;; amdgpu-corpus repo=ROCm/rocFFT kind=compiled arch=gfx1030 opt=O3
	.text
	.amdgcn_target "amdgcn-amd-amdhsa--gfx1030"
	.amdhsa_code_object_version 6
	.protected	bluestein_single_fwd_len1666_dim1_sp_op_CI_CI ; -- Begin function bluestein_single_fwd_len1666_dim1_sp_op_CI_CI
	.globl	bluestein_single_fwd_len1666_dim1_sp_op_CI_CI
	.p2align	8
	.type	bluestein_single_fwd_len1666_dim1_sp_op_CI_CI,@function
bluestein_single_fwd_len1666_dim1_sp_op_CI_CI: ; @bluestein_single_fwd_len1666_dim1_sp_op_CI_CI
; %bb.0:
	s_load_dwordx4 s[0:3], s[4:5], 0x28
	v_mul_u32_u24_e32 v1, 0x227, v0
	v_mov_b32_e32 v81, 0
	v_lshrrev_b32_e32 v1, 16, v1
	v_add_nc_u32_e32 v80, s6, v1
	s_waitcnt lgkmcnt(0)
	v_cmp_gt_u64_e32 vcc_lo, s[0:1], v[80:81]
	s_and_saveexec_b32 s0, vcc_lo
	s_cbranch_execz .LBB0_15
; %bb.1:
	s_clause 0x1
	s_load_dwordx2 s[12:13], s[4:5], 0x0
	s_load_dwordx2 s[14:15], s[4:5], 0x38
	v_mul_lo_u16 v1, 0x77, v1
	v_sub_nc_u16 v0, v0, v1
	v_and_b32_e32 v116, 0xffff, v0
	v_cmp_gt_u16_e32 vcc_lo, 0x62, v0
	v_lshlrev_b32_e32 v115, 3, v116
	s_and_saveexec_b32 s1, vcc_lo
	s_cbranch_execz .LBB0_3
; %bb.2:
	s_load_dwordx2 s[6:7], s[4:5], 0x18
	s_waitcnt lgkmcnt(0)
	v_add_co_u32 v23, s0, s12, v115
	v_add_co_ci_u32_e64 v24, null, s13, 0, s0
	v_add_nc_u32_e32 v70, 0x400, v115
	v_add_co_u32 v6, s0, 0x800, v23
	v_add_co_ci_u32_e64 v7, s0, 0, v24, s0
	v_add_co_u32 v10, s0, 0x1000, v23
	v_add_co_ci_u32_e64 v11, s0, 0, v24, s0
	;; [unrolled: 2-line block ×3, first 2 shown]
	v_add_co_u32 v16, s0, 0x2000, v23
	s_load_dwordx4 s[8:11], s[6:7], 0x0
	v_add_co_ci_u32_e64 v17, s0, 0, v24, s0
	s_clause 0x2
	global_load_dwordx2 v[0:1], v115, s[12:13]
	global_load_dwordx2 v[2:3], v115, s[12:13] offset:784
	global_load_dwordx2 v[4:5], v115, s[12:13] offset:1568
	v_add_nc_u32_e32 v71, 0x800, v115
	v_add_nc_u32_e32 v72, 0x1000, v115
	;; [unrolled: 1-line block ×6, first 2 shown]
	s_waitcnt lgkmcnt(0)
	v_mad_u64_u32 v[8:9], null, s10, v80, 0
	v_mad_u64_u32 v[12:13], null, s8, v116, 0
	s_mul_i32 s6, s9, 0x310
	s_mul_hi_u32 s7, s8, 0x310
	s_add_i32 s7, s7, s6
	v_mad_u64_u32 v[18:19], null, s11, v80, v[9:10]
	v_mad_u64_u32 v[21:22], null, s9, v116, v[13:14]
	v_add_co_u32 v19, s0, 0x2800, v23
	v_add_co_ci_u32_e64 v20, s0, 0, v24, s0
	v_mov_b32_e32 v9, v18
	v_add_co_u32 v22, s0, 0x3000, v23
	v_mov_b32_e32 v13, v21
	v_add_co_ci_u32_e64 v23, s0, 0, v24, s0
	v_lshlrev_b64 v[8:9], 3, v[8:9]
	s_clause 0x2
	global_load_dwordx2 v[24:25], v[6:7], off offset:304
	global_load_dwordx2 v[26:27], v[6:7], off offset:1088
	;; [unrolled: 1-line block ×3, first 2 shown]
	v_lshlrev_b64 v[12:13], 3, v[12:13]
	s_clause 0x7
	global_load_dwordx2 v[28:29], v[10:11], off offset:608
	global_load_dwordx2 v[10:11], v[10:11], off offset:1392
	global_load_dwordx2 v[30:31], v[14:15], off offset:128
	global_load_dwordx2 v[32:33], v[14:15], off offset:912
	global_load_dwordx2 v[14:15], v[14:15], off offset:1696
	global_load_dwordx2 v[36:37], v[16:17], off offset:432
	global_load_dwordx2 v[38:39], v[16:17], off offset:1216
	global_load_dwordx2 v[16:17], v[16:17], off offset:2000
	v_add_co_u32 v8, s0, s2, v8
	v_add_co_ci_u32_e64 v9, s0, s3, v9, s0
	s_mul_i32 s2, s8, 0x310
	v_add_co_u32 v8, s0, v8, v12
	v_add_co_ci_u32_e64 v9, s0, v9, v13, s0
	global_load_dwordx2 v[42:43], v[19:20], off offset:736
	v_add_co_u32 v12, s0, v8, s2
	v_add_co_ci_u32_e64 v13, s0, s7, v9, s0
	v_add_co_u32 v34, s0, v12, s2
	v_add_co_ci_u32_e64 v35, s0, s7, v13, s0
	;; [unrolled: 2-line block ×4, first 2 shown]
	s_clause 0x3
	global_load_dwordx2 v[8:9], v[8:9], off
	global_load_dwordx2 v[12:13], v[12:13], off
	;; [unrolled: 1-line block ×4, first 2 shown]
	v_add_co_u32 v46, s0, v44, s2
	v_add_co_ci_u32_e64 v47, s0, s7, v45, s0
	global_load_dwordx2 v[44:45], v[44:45], off
	v_add_co_u32 v48, s0, v46, s2
	v_add_co_ci_u32_e64 v49, s0, s7, v47, s0
	global_load_dwordx2 v[46:47], v[46:47], off
	v_add_co_u32 v50, s0, v48, s2
	v_add_co_ci_u32_e64 v51, s0, s7, v49, s0
	global_load_dwordx2 v[48:49], v[48:49], off
	v_add_co_u32 v52, s0, v50, s2
	v_add_co_ci_u32_e64 v53, s0, s7, v51, s0
	global_load_dwordx2 v[50:51], v[50:51], off
	v_add_co_u32 v54, s0, v52, s2
	v_add_co_ci_u32_e64 v55, s0, s7, v53, s0
	global_load_dwordx2 v[52:53], v[52:53], off
	v_add_co_u32 v56, s0, v54, s2
	v_add_co_ci_u32_e64 v57, s0, s7, v55, s0
	global_load_dwordx2 v[54:55], v[54:55], off
	v_add_co_u32 v58, s0, v56, s2
	v_add_co_ci_u32_e64 v59, s0, s7, v57, s0
	global_load_dwordx2 v[56:57], v[56:57], off
	v_add_co_u32 v60, s0, v58, s2
	v_add_co_ci_u32_e64 v61, s0, s7, v59, s0
	global_load_dwordx2 v[58:59], v[58:59], off
	v_add_co_u32 v62, s0, v60, s2
	v_add_co_ci_u32_e64 v63, s0, s7, v61, s0
	global_load_dwordx2 v[60:61], v[60:61], off
	v_add_co_u32 v64, s0, v62, s2
	v_add_co_ci_u32_e64 v65, s0, s7, v63, s0
	global_load_dwordx2 v[62:63], v[62:63], off
	v_add_co_u32 v66, s0, v64, s2
	v_add_co_ci_u32_e64 v67, s0, s7, v65, s0
	global_load_dwordx2 v[64:65], v[64:65], off
	v_add_co_u32 v68, s0, v66, s2
	v_add_co_ci_u32_e64 v69, s0, s7, v67, s0
	global_load_dwordx2 v[18:19], v[19:20], off offset:1520
	global_load_dwordx2 v[20:21], v[66:67], off
	global_load_dwordx2 v[22:23], v[22:23], off offset:256
	global_load_dwordx2 v[66:67], v[68:69], off
	s_waitcnt vmcnt(18)
	v_mul_f32_e32 v68, v9, v1
	v_mul_f32_e32 v69, v8, v1
	s_waitcnt vmcnt(17)
	v_mul_f32_e32 v1, v13, v3
	v_fmac_f32_e32 v68, v8, v0
	v_fma_f32 v69, v9, v0, -v69
	v_mul_f32_e32 v0, v12, v3
	s_waitcnt vmcnt(16)
	v_mul_f32_e32 v3, v35, v5
	v_mul_f32_e32 v5, v34, v5
	s_waitcnt vmcnt(15)
	v_mul_f32_e32 v8, v41, v25
	v_mul_f32_e32 v9, v40, v25
	v_fmac_f32_e32 v1, v12, v2
	v_fma_f32 v2, v13, v2, -v0
	v_fmac_f32_e32 v3, v34, v4
	v_fma_f32 v4, v35, v4, -v5
	;; [unrolled: 2-line block ×3, first 2 shown]
	s_waitcnt vmcnt(14)
	v_mul_f32_e32 v5, v44, v27
	v_mul_f32_e32 v0, v45, v27
	ds_write2_b64 v115, v[68:69], v[1:2] offset1:98
	s_waitcnt vmcnt(13)
	v_mul_f32_e32 v2, v47, v7
	ds_write2_b64 v70, v[3:4], v[8:9] offset0:68 offset1:166
	v_mul_f32_e32 v3, v46, v7
	v_fma_f32 v1, v45, v26, -v5
	s_waitcnt vmcnt(12)
	v_mul_f32_e32 v4, v49, v29
	v_mul_f32_e32 v5, v48, v29
	s_waitcnt vmcnt(11)
	v_mul_f32_e32 v7, v51, v11
	v_mul_f32_e32 v8, v50, v11
	v_fmac_f32_e32 v0, v44, v26
	v_fmac_f32_e32 v2, v46, v6
	v_fma_f32 v3, v47, v6, -v3
	v_fmac_f32_e32 v4, v48, v28
	v_fma_f32 v5, v49, v28, -v5
	;; [unrolled: 2-line block ×3, first 2 shown]
	s_waitcnt vmcnt(10)
	v_mul_f32_e32 v9, v52, v31
	ds_write2_b64 v71, v[0:1], v[2:3] offset0:136 offset1:234
	s_waitcnt vmcnt(8)
	v_mul_f32_e32 v2, v57, v15
	v_mul_f32_e32 v3, v56, v15
	;; [unrolled: 1-line block ×5, first 2 shown]
	ds_write2_b64 v72, v[4:5], v[7:8] offset0:76 offset1:174
	s_waitcnt vmcnt(7)
	v_mul_f32_e32 v4, v59, v37
	v_mul_f32_e32 v5, v58, v37
	v_fma_f32 v7, v53, v30, -v9
	v_fmac_f32_e32 v2, v56, v14
	s_waitcnt vmcnt(6)
	v_mul_f32_e32 v8, v61, v39
	v_mul_f32_e32 v9, v60, v39
	v_fma_f32 v3, v57, v14, -v3
	v_fmac_f32_e32 v6, v52, v30
	v_fmac_f32_e32 v0, v54, v32
	s_waitcnt vmcnt(5)
	v_mul_f32_e32 v10, v63, v17
	v_mul_f32_e32 v11, v62, v17
	v_fma_f32 v1, v55, v32, -v1
	v_fmac_f32_e32 v4, v58, v36
	v_fma_f32 v5, v59, v36, -v5
	s_waitcnt vmcnt(4)
	v_mul_f32_e32 v12, v65, v43
	v_mul_f32_e32 v13, v64, v43
	v_fmac_f32_e32 v10, v62, v16
	s_waitcnt vmcnt(2)
	v_mul_f32_e32 v14, v21, v19
	v_mul_f32_e32 v15, v20, v19
	v_fma_f32 v11, v63, v16, -v11
	s_waitcnt vmcnt(0)
	v_mul_f32_e32 v16, v67, v23
	v_mul_f32_e32 v17, v66, v23
	v_fmac_f32_e32 v8, v60, v38
	v_fma_f32 v9, v61, v38, -v9
	v_fmac_f32_e32 v12, v64, v42
	v_fma_f32 v13, v65, v42, -v13
	;; [unrolled: 2-line block ×4, first 2 shown]
	ds_write2_b64 v73, v[6:7], v[0:1] offset0:16 offset1:114
	ds_write2_b64 v74, v[2:3], v[4:5] offset0:84 offset1:182
	;; [unrolled: 1-line block ×4, first 2 shown]
	ds_write_b64 v115, v[16:17] offset:12544
.LBB0_3:
	s_or_b32 exec_lo, exec_lo, s1
	s_clause 0x1
	s_load_dwordx2 s[2:3], s[4:5], 0x20
	s_load_dwordx2 s[0:1], s[4:5], 0x8
	v_mov_b32_e32 v4, 0
	v_mov_b32_e32 v5, 0
	s_waitcnt lgkmcnt(0)
	s_barrier
	buffer_gl0_inv
                                        ; implicit-def: $vgpr14
                                        ; implicit-def: $vgpr8
                                        ; implicit-def: $vgpr36
                                        ; implicit-def: $vgpr18
                                        ; implicit-def: $vgpr26
                                        ; implicit-def: $vgpr30
                                        ; implicit-def: $vgpr22
                                        ; implicit-def: $vgpr34
	s_and_saveexec_b32 s4, vcc_lo
	s_cbranch_execz .LBB0_5
; %bb.4:
	v_add_nc_u32_e32 v0, 0x400, v115
	v_add_nc_u32_e32 v1, 0x800, v115
	;; [unrolled: 1-line block ×3, first 2 shown]
	ds_read2_b64 v[4:7], v115 offset1:98
	v_add_nc_u32_e32 v3, 0x2000, v115
	ds_read2_b64 v[32:35], v0 offset0:68 offset1:166
	ds_read2_b64 v[20:23], v1 offset0:136 offset1:234
	v_add_nc_u32_e32 v0, 0x1800, v115
	v_add_nc_u32_e32 v1, 0x1c00, v115
	;; [unrolled: 1-line block ×3, first 2 shown]
	ds_read2_b64 v[28:31], v2 offset0:76 offset1:174
	ds_read2_b64 v[24:27], v0 offset0:16 offset1:114
	;; [unrolled: 1-line block ×5, first 2 shown]
	ds_read_b64 v[36:37], v115 offset:12544
.LBB0_5:
	s_or_b32 exec_lo, exec_lo, s4
	s_waitcnt lgkmcnt(0)
	v_sub_f32_e32 v67, v7, v37
	v_sub_f32_e32 v89, v6, v36
	v_add_f32_e32 v40, v36, v6
	v_sub_f32_e32 v70, v33, v11
	v_add_f32_e32 v42, v37, v7
	v_mul_f32_e32 v47, 0xbeb8f4ab, v67
	v_mul_f32_e32 v49, 0xbeb8f4ab, v89
	v_add_f32_e32 v41, v10, v32
	v_mul_f32_e32 v50, 0xbf2c7751, v70
	v_sub_f32_e32 v94, v32, v10
	v_fmamk_f32 v0, v40, 0x3f6eb680, v47
	v_sub_f32_e32 v75, v35, v9
	v_mul_f32_e32 v58, 0xbf2c7751, v67
	v_fma_f32 v1, 0x3f6eb680, v42, -v49
	v_fmamk_f32 v38, v41, 0x3f3d2fb0, v50
	v_add_f32_e32 v0, v0, v4
	v_add_f32_e32 v43, v11, v33
	v_mul_f32_e32 v53, 0xbf2c7751, v94
	v_add_f32_e32 v44, v8, v34
	v_mul_f32_e32 v54, 0xbf65296c, v75
	v_mul_f32_e32 v63, 0xbf2c7751, v89
	v_fmamk_f32 v2, v40, 0x3f3d2fb0, v58
	v_add_f32_e32 v1, v1, v5
	v_add_f32_e32 v0, v38, v0
	v_fma_f32 v38, 0x3f3d2fb0, v43, -v53
	v_mul_f32_e32 v68, 0xbf7ee86f, v70
	v_sub_f32_e32 v101, v34, v8
	v_fmamk_f32 v46, v44, 0x3ee437d1, v54
	v_sub_f32_e32 v84, v21, v15
	v_fma_f32 v3, 0x3f3d2fb0, v42, -v63
	v_add_f32_e32 v2, v2, v4
	v_mul_f32_e32 v74, 0xbf7ee86f, v94
	v_add_f32_e32 v1, v38, v1
	v_fmamk_f32 v38, v41, 0x3dbcf732, v68
	v_add_f32_e32 v45, v9, v35
	v_mul_f32_e32 v57, 0xbf65296c, v101
	v_add_f32_e32 v0, v46, v0
	v_add_f32_e32 v46, v14, v20
	v_mul_f32_e32 v59, 0xbf7ee86f, v84
	v_add_f32_e32 v3, v3, v5
	v_fma_f32 v39, 0x3dbcf732, v43, -v74
	v_add_f32_e32 v2, v38, v2
	v_fma_f32 v38, 0x3ee437d1, v45, -v57
	v_mul_f32_e32 v72, 0xbf4c4adb, v75
	v_mul_f32_e32 v76, 0xbf4c4adb, v101
	v_sub_f32_e32 v103, v20, v14
	v_fmamk_f32 v51, v46, 0x3dbcf732, v59
	v_sub_f32_e32 v90, v23, v13
	v_mul_f32_e32 v92, 0xbf65296c, v67
	v_add_f32_e32 v3, v39, v3
	v_add_f32_e32 v1, v38, v1
	v_fmamk_f32 v38, v44, 0xbf1a4643, v72
	v_fma_f32 v39, 0xbf1a4643, v45, -v76
	v_add_f32_e32 v48, v15, v21
	v_mul_f32_e32 v62, 0xbf7ee86f, v103
	v_add_f32_e32 v0, v51, v0
	v_mul_f32_e32 v83, 0xbe3c28d5, v103
	;; [unrolled: 2-line block ×3, first 2 shown]
	v_sub_f32_e32 v106, v22, v12
	v_mul_f32_e32 v123, 0xbf65296c, v89
	v_add_f32_e32 v2, v38, v2
	v_add_f32_e32 v3, v39, v3
	v_fma_f32 v38, 0x3dbcf732, v48, -v62
	v_mul_f32_e32 v78, 0xbe3c28d5, v84
	v_fma_f32 v55, 0xbf7ba420, v48, -v83
	v_add_f32_e32 v52, v13, v23
	v_fmamk_f32 v56, v51, 0xbe8c1d8e, v64
	v_mul_f32_e32 v69, 0xbf763a35, v106
	v_sub_f32_e32 v98, v29, v19
	v_sub_f32_e32 v105, v28, v18
	v_fmamk_f32 v81, v40, 0x3ee437d1, v92
	v_mul_f32_e32 v118, 0xbf4c4adb, v70
	v_fma_f32 v82, 0x3ee437d1, v42, -v123
	v_mul_f32_e32 v124, 0xbf4c4adb, v94
	v_fmamk_f32 v39, v46, 0xbf7ba420, v78
	v_add_f32_e32 v1, v38, v1
	v_add_f32_e32 v3, v55, v3
	;; [unrolled: 1-line block ×3, first 2 shown]
	v_fma_f32 v38, 0xbe8c1d8e, v52, -v69
	v_mul_f32_e32 v85, 0x3f06c442, v90
	v_mul_f32_e32 v91, 0x3f06c442, v106
	v_add_f32_e32 v55, v18, v28
	v_mul_f32_e32 v71, 0xbf4c4adb, v98
	v_add_f32_e32 v56, v19, v29
	v_mul_f32_e32 v73, 0xbf4c4adb, v105
	v_add_f32_e32 v81, v81, v4
	v_fmamk_f32 v108, v41, 0xbf1a4643, v118
	v_mul_f32_e32 v113, 0x3e3c28d5, v75
	v_add_f32_e32 v82, v82, v5
	v_fma_f32 v109, 0xbf1a4643, v43, -v124
	v_mul_f32_e32 v122, 0x3e3c28d5, v101
	v_add_f32_e32 v2, v39, v2
	v_fmamk_f32 v39, v51, 0xbf59a7d5, v85
	v_fma_f32 v60, 0xbf59a7d5, v52, -v91
	v_fmamk_f32 v61, v55, 0xbf1a4643, v71
	v_add_f32_e32 v1, v38, v1
	v_fma_f32 v38, 0xbf1a4643, v56, -v73
	v_mul_f32_e32 v88, 0x3f763a35, v98
	v_sub_f32_e32 v97, v31, v17
	v_sub_f32_e32 v107, v30, v16
	v_add_f32_e32 v81, v108, v81
	v_fmamk_f32 v108, v44, 0xbf7ba420, v113
	v_mul_f32_e32 v114, 0x3f763a35, v84
	v_add_f32_e32 v82, v109, v82
	v_fma_f32 v109, 0xbf7ba420, v45, -v122
	v_mul_f32_e32 v121, 0x3f763a35, v103
	v_add_f32_e32 v2, v39, v2
	v_add_f32_e32 v3, v60, v3
	;; [unrolled: 1-line block ×4, first 2 shown]
	v_mul_f32_e32 v99, 0x3f763a35, v105
	v_fmamk_f32 v38, v55, 0xbe8c1d8e, v88
	v_add_f32_e32 v60, v16, v30
	v_mul_f32_e32 v77, 0xbf06c442, v97
	v_add_f32_e32 v61, v17, v31
	v_mul_f32_e32 v79, 0xbf06c442, v107
	v_add_f32_e32 v81, v108, v81
	v_fmamk_f32 v108, v46, 0xbe8c1d8e, v114
	v_mul_f32_e32 v111, 0x3f2c7751, v90
	v_add_f32_e32 v82, v109, v82
	v_fma_f32 v109, 0xbe8c1d8e, v48, -v121
	v_mul_f32_e32 v120, 0x3f2c7751, v106
	v_mul_f32_e32 v93, 0x3f65296c, v97
	v_fma_f32 v39, 0xbe8c1d8e, v56, -v99
	v_fmamk_f32 v65, v60, 0xbf59a7d5, v77
	v_add_f32_e32 v2, v38, v2
	v_fma_f32 v38, 0xbf59a7d5, v61, -v79
	v_mul_f32_e32 v102, 0x3f65296c, v107
	v_sub_f32_e32 v95, v25, v27
	v_add_f32_e32 v81, v108, v81
	v_fmamk_f32 v108, v51, 0x3f3d2fb0, v111
	v_mul_f32_e32 v112, 0xbeb8f4ab, v98
	v_add_f32_e32 v82, v109, v82
	v_fma_f32 v110, 0x3f3d2fb0, v52, -v120
	v_mul_f32_e32 v119, 0xbeb8f4ab, v105
	v_fmamk_f32 v66, v60, 0x3ee437d1, v93
	v_add_f32_e32 v3, v39, v3
	v_add_f32_e32 v0, v65, v0
	v_add_f32_e32 v1, v38, v1
	v_sub_f32_e32 v100, v24, v26
	v_fma_f32 v38, 0x3ee437d1, v61, -v102
	v_add_f32_e32 v65, v26, v24
	v_mul_f32_e32 v86, 0xbe3c28d5, v95
	v_add_f32_e32 v81, v108, v81
	v_fmamk_f32 v108, v55, 0x3f6eb680, v112
	v_mul_f32_e32 v109, 0xbf7ee86f, v97
	v_add_f32_e32 v82, v110, v82
	v_fma_f32 v110, 0x3f6eb680, v56, -v119
	v_mul_f32_e32 v117, 0xbf7ee86f, v107
	v_add_f32_e32 v2, v66, v2
	v_add_f32_e32 v66, v27, v25
	v_mul_f32_e32 v87, 0xbe3c28d5, v100
	v_mul_f32_e32 v96, 0x3eb8f4ab, v95
	;; [unrolled: 1-line block ×3, first 2 shown]
	v_add_f32_e32 v3, v38, v3
	v_fmamk_f32 v38, v65, 0xbf7ba420, v86
	v_add_f32_e32 v127, v108, v81
	v_fmamk_f32 v128, v60, 0x3dbcf732, v109
	v_mul_f32_e32 v108, 0xbf06c442, v95
	v_add_f32_e32 v82, v110, v82
	v_fma_f32 v129, 0x3dbcf732, v61, -v117
	v_mul_f32_e32 v110, 0xbf06c442, v100
	v_fma_f32 v39, 0xbf7ba420, v66, -v87
	v_fmamk_f32 v125, v65, 0x3f6eb680, v96
	v_fma_f32 v126, 0x3f6eb680, v66, -v104
	v_add_f32_e32 v81, v38, v0
	v_add_f32_e32 v0, v128, v127
	v_fmamk_f32 v38, v65, 0xbf59a7d5, v108
	v_add_f32_e32 v127, v129, v82
	v_fma_f32 v128, 0xbf59a7d5, v66, -v110
	v_add_f32_e32 v82, v39, v1
	v_add_f32_e32 v2, v125, v2
	;; [unrolled: 1-line block ×5, first 2 shown]
	s_barrier
	buffer_gl0_inv
	s_and_saveexec_b32 s4, vcc_lo
	s_cbranch_execz .LBB0_7
; %bb.6:
	v_mul_f32_e32 v131, 0xbe8c1d8e, v42
	v_mul_f32_e32 v132, 0xbf59a7d5, v43
	v_mul_f32_e32 v133, 0xbf763a35, v67
	v_mul_f32_e32 v134, 0x3f06c442, v70
	v_mul_f32_e32 v135, 0x3f3d2fb0, v45
	v_fmamk_f32 v38, v89, 0x3f763a35, v131
	v_fmamk_f32 v39, v94, 0xbf06c442, v132
	;; [unrolled: 1-line block ×3, first 2 shown]
	v_mul_f32_e32 v136, 0x3ee437d1, v48
	v_mul_f32_e32 v137, 0x3f2c7751, v75
	v_add_f32_e32 v38, v38, v5
	v_fmamk_f32 v126, v41, 0xbf59a7d5, v134
	v_fmamk_f32 v127, v101, 0xbf2c7751, v135
	v_add_f32_e32 v125, v125, v4
	v_add_f32_e32 v7, v7, v5
	;; [unrolled: 1-line block ×3, first 2 shown]
	v_fmamk_f32 v39, v103, 0x3f65296c, v136
	v_fmamk_f32 v128, v44, 0x3f3d2fb0, v137
	v_add_f32_e32 v125, v126, v125
	v_mul_f32_e32 v138, 0xbf7ba420, v52
	v_add_f32_e32 v38, v127, v38
	v_mul_f32_e32 v139, 0xbf65296c, v84
	v_add_f32_e32 v6, v6, v4
	v_add_f32_e32 v7, v33, v7
	;; [unrolled: 1-line block ×4, first 2 shown]
	v_fmamk_f32 v39, v106, 0x3e3c28d5, v138
	v_fmamk_f32 v125, v46, 0x3ee437d1, v139
	v_mul_f32_e32 v140, 0x3dbcf732, v56
	v_mul_f32_e32 v141, 0xbe3c28d5, v90
	v_add_f32_e32 v6, v32, v6
	v_add_f32_e32 v32, v39, v38
	;; [unrolled: 1-line block ×3, first 2 shown]
	v_fmamk_f32 v38, v105, 0xbf7ee86f, v140
	v_mul_f32_e32 v142, 0x3f6eb680, v61
	v_fmamk_f32 v39, v51, 0xbf7ba420, v141
	v_mul_f32_e32 v143, 0x3f7ee86f, v98
	v_add_f32_e32 v125, v35, v7
	v_add_f32_e32 v7, v38, v32
	v_fmamk_f32 v32, v107, 0x3eb8f4ab, v142
	v_add_f32_e32 v33, v39, v33
	v_fmamk_f32 v35, v55, 0x3dbcf732, v143
	v_mul_f32_e32 v144, 0xbeb8f4ab, v97
	v_mul_f32_e32 v129, 0xbf1a4643, v42
	;; [unrolled: 1-line block ×3, first 2 shown]
	v_add_f32_e32 v7, v32, v7
	v_add_f32_e32 v32, v35, v33
	v_fmamk_f32 v33, v60, 0x3f6eb680, v144
	v_add_f32_e32 v126, v34, v6
	v_fmamk_f32 v6, v89, 0x3f4c4adb, v129
	v_mul_f32_e32 v130, 0xbe8c1d8e, v43
	v_mul_f32_e32 v146, 0xbf4c4adb, v67
	v_fmamk_f32 v35, v100, 0x3f4c4adb, v145
	v_add_f32_e32 v32, v33, v32
	v_add_f32_e32 v6, v6, v5
	v_fmamk_f32 v33, v94, 0xbf763a35, v130
	v_mul_f32_e32 v147, 0x3f6eb680, v45
	v_fmamk_f32 v34, v40, 0xbf1a4643, v146
	v_mul_f32_e32 v149, 0x3f763a35, v70
	v_add_f32_e32 v7, v35, v7
	v_add_f32_e32 v6, v33, v6
	v_fmamk_f32 v33, v101, 0x3eb8f4ab, v147
	v_mul_f32_e32 v150, 0xbf59a7d5, v48
	v_add_f32_e32 v34, v34, v4
	v_fmamk_f32 v35, v41, 0xbe8c1d8e, v149
	v_mul_f32_e32 v151, 0xbeb8f4ab, v75
	;; [unrolled: 3-line block ×6, first 2 shown]
	v_mul_f32_e32 v148, 0xbf4c4adb, v95
	v_add_f32_e32 v6, v33, v6
	v_fmamk_f32 v33, v105, 0x3f2c7751, v154
	v_mul_f32_e32 v156, 0xbf7ba420, v61
	v_add_f32_e32 v34, v35, v34
	v_fmamk_f32 v35, v51, 0x3dbcf732, v155
	v_mul_f32_e32 v157, 0xbf2c7751, v98
	v_fmamk_f32 v38, v65, 0xbf1a4643, v148
	v_add_f32_e32 v6, v33, v6
	v_fmamk_f32 v33, v107, 0x3e3c28d5, v156
	v_add_f32_e32 v34, v35, v34
	v_fmamk_f32 v35, v55, 0x3f3d2fb0, v157
	v_mul_f32_e32 v158, 0xbe3c28d5, v97
	v_mul_f32_e32 v127, 0xbf59a7d5, v42
	;; [unrolled: 1-line block ×3, first 2 shown]
	v_add_f32_e32 v33, v33, v6
	v_add_f32_e32 v34, v35, v34
	v_fmamk_f32 v35, v60, 0xbf7ba420, v158
	v_add_f32_e32 v6, v38, v32
	v_fmamk_f32 v32, v89, 0x3f06c442, v127
	v_mul_f32_e32 v128, 0x3ee437d1, v43
	v_mul_f32_e32 v160, 0xbf06c442, v67
	v_fmamk_f32 v39, v100, 0xbf65296c, v159
	v_add_f32_e32 v34, v35, v34
	v_add_f32_e32 v32, v32, v5
	v_fmamk_f32 v35, v94, 0xbf65296c, v128
	v_mul_f32_e32 v161, 0x3dbcf732, v45
	v_fmamk_f32 v38, v40, 0xbf59a7d5, v160
	v_mul_f32_e32 v163, 0x3f65296c, v70
	v_add_f32_e32 v33, v39, v33
	v_add_f32_e32 v32, v35, v32
	v_fmamk_f32 v35, v101, 0x3f7ee86f, v161
	v_mul_f32_e32 v164, 0xbf1a4643, v48
	v_add_f32_e32 v38, v38, v4
	v_fmamk_f32 v39, v41, 0x3ee437d1, v163
	v_mul_f32_e32 v165, 0xbf7ee86f, v75
	;; [unrolled: 3-line block ×6, first 2 shown]
	v_mul_f32_e32 v162, 0x3f65296c, v95
	v_add_f32_e32 v32, v35, v32
	v_fmamk_f32 v35, v105, 0x3e3c28d5, v168
	v_mul_f32_e32 v170, 0x3f3d2fb0, v61
	v_add_f32_e32 v38, v39, v38
	v_fmamk_f32 v39, v51, 0x3f6eb680, v169
	v_mul_f32_e32 v171, 0xbe3c28d5, v98
	v_fmamk_f32 v172, v65, 0x3ee437d1, v162
	v_add_f32_e32 v35, v35, v32
	v_fmamk_f32 v173, v107, 0xbf2c7751, v170
	v_add_f32_e32 v38, v39, v38
	v_fmamk_f32 v39, v55, 0xbf7ba420, v171
	v_mul_f32_e32 v174, 0xbf7ba420, v42
	v_add_f32_e32 v32, v172, v34
	v_add_f32_e32 v34, v173, v35
	v_mul_f32_e32 v178, 0xbf59a7d5, v45
	v_add_f32_e32 v35, v39, v38
	v_fmamk_f32 v38, v89, 0x3e3c28d5, v174
	v_mul_f32_e32 v39, 0x3f6eb680, v43
	v_mul_f32_e32 v179, 0xbe3c28d5, v67
	v_mul_f32_e32 v180, 0x3f3d2fb0, v48
	v_mul_f32_e32 v183, 0x3eb8f4ab, v70
	v_add_f32_e32 v38, v38, v5
	v_fmamk_f32 v177, v94, 0xbeb8f4ab, v39
	v_fmamk_f32 v182, v40, 0xbf7ba420, v179
	v_mul_f32_e32 v172, 0x3f2c7751, v97
	v_mul_f32_e32 v184, 0xbf1a4643, v52
	v_fmamk_f32 v185, v41, 0x3f6eb680, v183
	v_add_f32_e32 v38, v177, v38
	v_fmamk_f32 v177, v101, 0x3f06c442, v178
	v_add_f32_e32 v182, v182, v4
	v_mul_f32_e32 v186, 0xbf06c442, v75
	v_fmamk_f32 v173, v60, 0x3f3d2fb0, v172
	v_mul_f32_e32 v175, 0xbe8c1d8e, v66
	v_add_f32_e32 v38, v177, v38
	v_fmamk_f32 v177, v103, 0xbf2c7751, v180
	v_mul_f32_e32 v176, 0xbf763a35, v95
	v_mul_f32_e32 v187, 0x3ee437d1, v56
	v_add_f32_e32 v182, v185, v182
	v_fmamk_f32 v185, v44, 0xbf59a7d5, v186
	v_add_f32_e32 v38, v177, v38
	v_fmamk_f32 v177, v106, 0x3f4c4adb, v184
	v_mul_f32_e32 v188, 0x3f2c7751, v84
	v_add_f32_e32 v173, v173, v35
	v_fmamk_f32 v35, v100, 0x3f763a35, v175
	v_fmamk_f32 v181, v65, 0xbe8c1d8e, v176
	v_add_f32_e32 v38, v177, v38
	v_fmamk_f32 v177, v105, 0xbf65296c, v187
	v_add_f32_e32 v182, v185, v182
	v_fmamk_f32 v185, v46, 0x3f3d2fb0, v188
	v_mul_f32_e32 v189, 0xbf4c4adb, v90
	v_add_f32_e32 v35, v35, v34
	v_add_f32_e32 v34, v181, v173
	;; [unrolled: 1-line block ×3, first 2 shown]
	v_fmac_f32_e32 v174, 0xbe3c28d5, v89
	v_add_f32_e32 v173, v185, v182
	v_fmamk_f32 v177, v51, 0xbf1a4643, v189
	v_mul_f32_e32 v181, 0x3f65296c, v98
	v_fmac_f32_e32 v39, 0x3eb8f4ab, v94
	v_add_f32_e32 v174, v174, v5
	v_mul_f32_e32 v185, 0xbf763a35, v97
	v_add_f32_e32 v173, v177, v173
	v_fmamk_f32 v177, v55, 0x3ee437d1, v181
	v_mul_f32_e32 v182, 0xbe8c1d8e, v61
	v_add_f32_e32 v39, v39, v174
	v_fmac_f32_e32 v178, 0xbf06c442, v101
	v_fmamk_f32 v174, v60, 0xbe8c1d8e, v185
	v_add_f32_e32 v173, v177, v173
	v_fma_f32 v177, 0xbf7ba420, v40, -v179
	v_fmamk_f32 v190, v107, 0x3f763a35, v182
	v_add_f32_e32 v39, v178, v39
	v_fmac_f32_e32 v180, 0x3f2c7751, v103
	v_add_f32_e32 v173, v174, v173
	v_mul_f32_e32 v174, 0x3dbcf732, v66
	v_add_f32_e32 v177, v177, v4
	v_fma_f32 v178, 0x3f6eb680, v41, -v183
	v_add_f32_e32 v38, v190, v38
	v_add_f32_e32 v39, v180, v39
	v_fmac_f32_e32 v184, 0xbf4c4adb, v106
	v_fmamk_f32 v179, v100, 0xbf7ee86f, v174
	v_mul_f32_e32 v180, 0x3f7ee86f, v95
	v_add_f32_e32 v177, v178, v177
	v_fma_f32 v178, 0xbf59a7d5, v44, -v186
	v_add_f32_e32 v183, v184, v39
	v_add_f32_e32 v39, v179, v38
	v_fmamk_f32 v38, v65, 0x3dbcf732, v180
	v_fmac_f32_e32 v127, 0xbf06c442, v89
	v_add_f32_e32 v177, v178, v177
	v_fma_f32 v178, 0x3f3d2fb0, v46, -v188
	v_fma_f32 v160, 0xbf59a7d5, v40, -v160
	v_add_f32_e32 v38, v38, v173
	v_add_f32_e32 v127, v127, v5
	v_fmac_f32_e32 v128, 0x3f65296c, v94
	v_add_f32_e32 v173, v178, v177
	v_fma_f32 v177, 0xbf1a4643, v51, -v189
	v_add_f32_e32 v160, v160, v4
	v_fma_f32 v163, 0x3ee437d1, v41, -v163
	v_add_f32_e32 v127, v128, v127
	v_fmac_f32_e32 v161, 0xbf7ee86f, v101
	v_add_f32_e32 v173, v177, v173
	v_fma_f32 v177, 0x3ee437d1, v55, -v181
	v_add_f32_e32 v160, v163, v160
	v_fma_f32 v163, 0x3dbcf732, v44, -v165
	v_fmac_f32_e32 v129, 0xbf4c4adb, v89
	v_add_f32_e32 v127, v161, v127
	v_add_f32_e32 v128, v177, v173
	v_fma_f32 v173, 0xbe8c1d8e, v60, -v185
	v_fmac_f32_e32 v164, 0x3f4c4adb, v103
	v_add_f32_e32 v160, v163, v160
	v_fma_f32 v163, 0xbf1a4643, v46, -v167
	v_add_f32_e32 v129, v129, v5
	v_fmac_f32_e32 v130, 0x3f763a35, v94
	v_fma_f32 v146, 0xbf1a4643, v40, -v146
	v_add_f32_e32 v161, v173, v128
	v_add_f32_e32 v127, v164, v127
	v_fmac_f32_e32 v166, 0xbeb8f4ab, v106
	v_fma_f32 v164, 0x3dbcf732, v65, -v180
	v_add_f32_e32 v160, v163, v160
	v_fma_f32 v163, 0x3f6eb680, v51, -v169
	v_add_f32_e32 v129, v130, v129
	v_fmac_f32_e32 v147, 0xbeb8f4ab, v101
	v_add_f32_e32 v146, v146, v4
	v_fma_f32 v149, 0xbe8c1d8e, v41, -v149
	v_add_f32_e32 v165, v166, v127
	v_add_f32_e32 v127, v164, v161
	;; [unrolled: 1-line block ×3, first 2 shown]
	v_fma_f32 v161, 0xbf7ba420, v55, -v171
	v_add_f32_e32 v129, v147, v129
	v_add_f32_e32 v146, v149, v146
	v_fma_f32 v147, 0x3f6eb680, v44, -v151
	v_fmac_f32_e32 v131, 0xbf763a35, v89
	v_fma_f32 v133, 0xbe8c1d8e, v40, -v133
	v_add_f32_e32 v160, v161, v160
	v_fma_f32 v161, 0x3f3d2fb0, v60, -v172
	v_fmac_f32_e32 v150, 0xbf06c442, v103
	v_add_f32_e32 v146, v147, v146
	v_fma_f32 v147, 0xbf59a7d5, v46, -v153
	v_add_f32_e32 v131, v131, v5
	v_fmac_f32_e32 v132, 0x3f06c442, v94
	v_add_f32_e32 v133, v133, v4
	v_fma_f32 v134, 0xbf59a7d5, v41, -v134
	v_add_f32_e32 v160, v161, v160
	v_fma_f32 v149, 0xbe8c1d8e, v65, -v176
	v_add_f32_e32 v150, v150, v129
	v_fmac_f32_e32 v152, 0x3f7ee86f, v106
	v_add_f32_e32 v146, v147, v146
	v_fma_f32 v147, 0x3dbcf732, v51, -v155
	v_add_f32_e32 v131, v132, v131
	v_fmac_f32_e32 v135, 0x3f2c7751, v101
	v_add_f32_e32 v132, v134, v133
	v_fma_f32 v133, 0x3f3d2fb0, v44, -v137
	v_add_f32_e32 v129, v149, v160
	v_add_f32_e32 v149, v152, v150
	v_fmac_f32_e32 v154, 0xbf2c7751, v105
	v_add_f32_e32 v146, v147, v146
	v_fma_f32 v147, 0x3f3d2fb0, v55, -v157
	v_add_f32_e32 v131, v135, v131
	v_fmac_f32_e32 v136, 0xbf65296c, v103
	v_add_f32_e32 v132, v133, v132
	v_fma_f32 v133, 0x3ee437d1, v46, -v139
	;; [unrolled: 4-line block ×4, first 2 shown]
	v_add_f32_e32 v137, v156, v149
	v_add_f32_e32 v134, v135, v134
	v_fmac_f32_e32 v159, 0x3f65296c, v100
	v_add_f32_e32 v131, v138, v131
	v_fmac_f32_e32 v140, 0x3f7ee86f, v105
	v_fma_f32 v135, 0x3ee437d1, v65, -v162
	v_add_f32_e32 v133, v133, v132
	v_fma_f32 v136, 0x3dbcf732, v55, -v143
	v_mul_f32_e32 v138, 0x3ee437d1, v42
	v_add_f32_e32 v132, v159, v137
	v_add_f32_e32 v137, v140, v131
	v_fmac_f32_e32 v142, 0xbeb8f4ab, v107
	v_add_f32_e32 v133, v136, v133
	v_fma_f32 v136, 0x3f6eb680, v60, -v144
	v_add_f32_e32 v131, v135, v134
	v_mul_f32_e32 v134, 0xbf1a4643, v43
	v_add_f32_e32 v123, v123, v138
	v_add_f32_e32 v135, v142, v137
	;; [unrolled: 1-line block ×3, first 2 shown]
	v_fmac_f32_e32 v145, 0xbf4c4adb, v100
	v_add_f32_e32 v124, v124, v134
	v_add_f32_e32 v134, v123, v5
	v_mul_f32_e32 v136, 0xbf7ba420, v45
	v_mul_f32_e32 v89, 0xbf7ee86f, v89
	v_fma_f32 v137, 0xbf1a4643, v65, -v148
	v_add_f32_e32 v123, v145, v135
	v_add_f32_e32 v124, v124, v134
	;; [unrolled: 1-line block ×3, first 2 shown]
	v_fmamk_f32 v135, v42, 0x3dbcf732, v89
	v_add_f32_e32 v122, v137, v133
	v_mul_f32_e32 v133, 0xbe8c1d8e, v48
	v_mul_f32_e32 v94, 0xbe3c28d5, v94
	v_add_f32_e32 v124, v134, v124
	v_add_f32_e32 v134, v135, v5
	v_mul_f32_e32 v135, 0x3ee437d1, v40
	v_add_f32_e32 v121, v121, v133
	v_mul_f32_e32 v133, 0xbf1a4643, v41
	v_fmamk_f32 v136, v43, 0xbf7ba420, v94
	v_mul_f32_e32 v101, 0x3f763a35, v101
	v_sub_f32_e32 v92, v135, v92
	v_mul_f32_e32 v135, 0x3f3d2fb0, v52
	v_sub_f32_e32 v118, v133, v118
	v_add_f32_e32 v121, v121, v124
	v_mul_f32_e32 v124, 0xbf7ba420, v44
	v_add_f32_e32 v92, v92, v4
	v_add_f32_e32 v134, v136, v134
	v_fmamk_f32 v136, v45, 0xbe8c1d8e, v101
	v_add_f32_e32 v120, v120, v135
	v_mul_f32_e32 v103, 0x3eb8f4ab, v103
	v_add_f32_e32 v92, v118, v92
	v_sub_f32_e32 v113, v124, v113
	v_mul_f32_e32 v118, 0xbe8c1d8e, v46
	v_add_f32_e32 v133, v136, v134
	v_mul_f32_e32 v124, 0x3f6eb680, v56
	v_add_f32_e32 v120, v120, v121
	v_fmamk_f32 v121, v48, 0x3f6eb680, v103
	v_add_f32_e32 v92, v113, v92
	v_sub_f32_e32 v113, v118, v114
	v_mul_f32_e32 v118, 0x3f3d2fb0, v51
	v_add_f32_e32 v114, v119, v124
	v_add_f32_e32 v119, v121, v133
	v_mul_f32_e32 v121, 0xbf65296c, v106
	v_add_f32_e32 v92, v113, v92
	v_mul_f32_e32 v106, 0x3dbcf732, v61
	v_sub_f32_e32 v111, v118, v111
	v_mul_f32_e32 v113, 0x3f6eb680, v55
	v_add_f32_e32 v114, v114, v120
	v_mul_f32_e32 v67, 0xbf7ee86f, v67
	v_add_f32_e32 v106, v117, v106
	v_add_f32_e32 v92, v111, v92
	v_sub_f32_e32 v111, v113, v112
	v_mul_f32_e32 v113, 0x3dbcf732, v60
	v_mul_f32_e32 v70, 0xbe3c28d5, v70
	v_add_f32_e32 v106, v106, v114
	v_mul_f32_e32 v114, 0xbf59a7d5, v66
	v_add_f32_e32 v92, v111, v92
	v_fma_f32 v111, 0x3dbcf732, v40, -v67
	v_sub_f32_e32 v109, v113, v109
	v_mul_f32_e32 v113, 0xbf59a7d5, v65
	v_add_f32_e32 v110, v110, v114
	v_fma_f32 v114, 0xbf7ba420, v41, -v70
	v_add_f32_e32 v111, v111, v4
	v_mul_f32_e32 v75, 0x3f763a35, v75
	v_add_f32_e32 v92, v109, v92
	v_sub_f32_e32 v108, v113, v108
	v_mul_f32_e32 v84, 0x3eb8f4ab, v84
	v_add_f32_e32 v111, v114, v111
	v_fma_f32 v113, 0xbe8c1d8e, v44, -v75
	v_fmac_f32_e32 v187, 0x3f65296c, v105
	v_fmac_f32_e32 v168, 0xbe3c28d5, v105
	v_fmamk_f32 v118, v52, 0x3ee437d1, v121
	v_mul_f32_e32 v109, 0xbf06c442, v105
	v_add_f32_e32 v106, v110, v106
	v_add_f32_e32 v105, v108, v92
	;; [unrolled: 1-line block ×3, first 2 shown]
	v_fma_f32 v110, 0x3f6eb680, v46, -v84
	v_mul_f32_e32 v111, 0x3f3d2fb0, v42
	v_mul_f32_e32 v90, 0xbf65296c, v90
	v_fmac_f32_e32 v182, 0xbf763a35, v107
	v_fmac_f32_e32 v170, 0x3f2c7751, v107
	v_add_f32_e32 v112, v118, v119
	v_fmamk_f32 v92, v56, 0xbf59a7d5, v109
	v_mul_f32_e32 v113, 0x3dbcf732, v43
	v_add_f32_e32 v108, v110, v108
	v_add_f32_e32 v63, v63, v111
	v_mul_f32_e32 v107, 0x3f4c4adb, v107
	v_fma_f32 v110, 0x3ee437d1, v51, -v90
	v_mul_f32_e32 v98, 0xbf06c442, v98
	v_add_f32_e32 v92, v92, v112
	v_add_f32_e32 v74, v74, v113
	;; [unrolled: 1-line block ×3, first 2 shown]
	v_mul_f32_e32 v111, 0xbf1a4643, v45
	v_fmamk_f32 v112, v61, 0xbf1a4643, v107
	v_add_f32_e32 v108, v110, v108
	v_fma_f32 v110, 0xbf59a7d5, v55, -v98
	v_add_f32_e32 v63, v74, v63
	v_add_f32_e32 v74, v76, v111
	v_add_f32_e32 v76, v112, v92
	v_mul_f32_e32 v92, 0x3f3d2fb0, v40
	v_add_f32_e32 v108, v110, v108
	v_mul_f32_e32 v110, 0xbf7ba420, v48
	v_add_f32_e32 v63, v74, v63
	v_mul_f32_e32 v74, 0x3dbcf732, v41
	v_sub_f32_e32 v58, v92, v58
	v_mul_f32_e32 v92, 0x3f6eb680, v40
	v_add_f32_e32 v83, v83, v110
	v_mul_f32_e32 v110, 0xbf59a7d5, v52
	v_sub_f32_e32 v68, v74, v68
	v_add_f32_e32 v58, v58, v4
	v_mul_f32_e32 v74, 0x3f6eb680, v42
	v_add_f32_e32 v63, v83, v63
	v_mul_f32_e32 v83, 0xbf1a4643, v44
	v_add_f32_e32 v91, v91, v110
	v_add_f32_e32 v58, v68, v58
	v_mul_f32_e32 v68, 0xbe8c1d8e, v56
	v_mul_f32_e32 v97, 0x3f4c4adb, v97
	v_sub_f32_e32 v72, v83, v72
	v_mul_f32_e32 v83, 0x3f3d2fb0, v43
	v_add_f32_e32 v63, v91, v63
	v_mul_f32_e32 v91, 0xbf7ba420, v46
	v_add_f32_e32 v68, v99, v68
	v_add_f32_e32 v58, v72, v58
	v_mul_f32_e32 v72, 0x3ee437d1, v61
	v_add_f32_e32 v49, v49, v74
	v_fmac_f32_e32 v174, 0x3f7ee86f, v100
	v_fmac_f32_e32 v175, 0xbf763a35, v100
	v_mul_f32_e32 v110, 0x3f3d2fb0, v41
	v_sub_f32_e32 v78, v91, v78
	v_mul_f32_e32 v91, 0x3ee437d1, v45
	v_add_f32_e32 v63, v68, v63
	v_mul_f32_e32 v68, 0xbf59a7d5, v51
	v_add_f32_e32 v72, v102, v72
	v_fma_f32 v102, 0xbf1a4643, v60, -v97
	v_add_f32_e32 v49, v49, v5
	v_add_f32_e32 v53, v53, v83
	v_mul_f32_e32 v100, 0x3f2c7751, v100
	v_sub_f32_e32 v47, v92, v47
	v_mul_f32_e32 v99, 0x3ee437d1, v44
	v_add_f32_e32 v58, v78, v58
	v_sub_f32_e32 v68, v68, v85
	v_mul_f32_e32 v85, 0x3dbcf732, v48
	v_add_f32_e32 v102, v102, v108
	v_mul_f32_e32 v108, 0xbe8c1d8e, v55
	v_add_f32_e32 v53, v53, v49
	v_sub_f32_e32 v49, v110, v50
	v_fmamk_f32 v50, v66, 0x3f3d2fb0, v100
	v_add_f32_e32 v110, v47, v4
	v_add_f32_e32 v57, v57, v91
	;; [unrolled: 1-line block ×4, first 2 shown]
	v_mul_f32_e32 v78, 0x3dbcf732, v46
	v_add_f32_e32 v58, v68, v58
	v_sub_f32_e32 v88, v108, v88
	v_mul_f32_e32 v108, 0xbe8c1d8e, v52
	v_add_f32_e32 v47, v50, v76
	v_add_f32_e32 v50, v49, v110
	v_sub_f32_e32 v54, v99, v54
	v_add_f32_e32 v53, v57, v53
	v_add_f32_e32 v57, v62, v85
	;; [unrolled: 1-line block ×5, first 2 shown]
	v_mul_f32_e32 v88, 0xbf1a4643, v56
	v_add_f32_e32 v50, v54, v50
	v_sub_f32_e32 v54, v78, v59
	v_add_f32_e32 v53, v57, v53
	v_add_f32_e32 v57, v69, v108
	;; [unrolled: 1-line block ×4, first 2 shown]
	v_mul_f32_e32 v83, 0xbf59a7d5, v61
	v_add_f32_e32 v22, v54, v50
	v_add_f32_e32 v50, v57, v53
	;; [unrolled: 1-line block ×5, first 2 shown]
	v_mul_f32_e32 v111, 0xbf7ba420, v66
	v_add_f32_e32 v29, v79, v83
	v_add_f32_e32 v28, v28, v50
	;; [unrolled: 1-line block ×5, first 2 shown]
	v_fmac_f32_e32 v67, 0x3dbcf732, v40
	v_add_f32_e32 v24, v29, v28
	v_add_f32_e32 v27, v27, v21
	;; [unrolled: 1-line block ×3, first 2 shown]
	v_fmac_f32_e32 v70, 0xbf7ba420, v41
	v_add_f32_e32 v4, v67, v4
	v_add_f32_e32 v21, v25, v24
	;; [unrolled: 1-line block ×4, first 2 shown]
	v_fma_f32 v24, 0x3dbcf732, v42, -v89
	v_add_f32_e32 v63, v72, v63
	v_mul_f32_e32 v72, 0x3f6eb680, v66
	v_add_f32_e32 v17, v19, v17
	v_add_f32_e32 v16, v18, v16
	;; [unrolled: 1-line block ×3, first 2 shown]
	v_fma_f32 v18, 0xbf7ba420, v43, -v94
	v_mul_f32_e32 v68, 0xbe8c1d8e, v51
	v_add_f32_e32 v13, v13, v17
	v_add_f32_e32 v12, v12, v16
	v_fma_f32 v16, 0xbe8c1d8e, v45, -v101
	v_add_f32_e32 v5, v18, v5
	v_add_f32_e32 v4, v70, v4
	v_fmac_f32_e32 v75, 0xbe8c1d8e, v44
	v_add_f32_e32 v72, v104, v72
	v_mul_f32_e32 v104, 0x3ee437d1, v60
	v_mul_f32_e32 v74, 0xbf1a4643, v55
	v_sub_f32_e32 v23, v68, v64
	v_add_f32_e32 v13, v15, v13
	v_add_f32_e32 v12, v14, v12
	v_add_f32_e32 v5, v16, v5
	v_fma_f32 v14, 0x3f6eb680, v48, -v103
	v_add_f32_e32 v4, v75, v4
	v_fmac_f32_e32 v84, 0x3f6eb680, v46
	v_sub_f32_e32 v93, v104, v93
	v_mul_f32_e32 v104, 0xbf59a7d5, v60
	v_add_f32_e32 v22, v23, v22
	v_sub_f32_e32 v23, v74, v71
	v_add_f32_e32 v9, v9, v13
	v_add_f32_e32 v8, v8, v12
	;; [unrolled: 1-line block ×3, first 2 shown]
	v_fma_f32 v12, 0x3ee437d1, v52, -v121
	v_add_f32_e32 v4, v84, v4
	v_fmac_f32_e32 v90, 0x3ee437d1, v51
	v_mul_f32_e32 v92, 0xbf7ba420, v65
	v_add_f32_e32 v22, v23, v22
	v_sub_f32_e32 v23, v104, v77
	v_add_f32_e32 v9, v11, v9
	v_add_f32_e32 v8, v10, v8
	;; [unrolled: 1-line block ×3, first 2 shown]
	v_fma_f32 v11, 0xbf59a7d5, v56, -v109
	v_add_f32_e32 v12, v90, v4
	v_fmac_f32_e32 v98, 0xbf59a7d5, v55
	v_mul_f32_e32 v91, 0x3f6eb680, v65
	v_mul_f32_e32 v95, 0x3f2c7751, v95
	v_add_f32_e32 v163, v168, v165
	v_add_f32_e32 v179, v187, v183
	;; [unrolled: 1-line block ×3, first 2 shown]
	v_sub_f32_e32 v23, v92, v86
	v_add_f32_e32 v5, v37, v9
	v_add_f32_e32 v4, v36, v8
	;; [unrolled: 1-line block ×3, first 2 shown]
	v_fma_f32 v9, 0xbf1a4643, v61, -v107
	v_add_f32_e32 v10, v98, v12
	v_fmac_f32_e32 v97, 0xbf1a4643, v60
	v_mul_lo_u16 v11, v116, 17
	v_mov_b32_e32 v12, 3
	v_add_f32_e32 v49, v72, v63
	v_add_f32_e32 v58, v93, v58
	v_sub_f32_e32 v63, v91, v96
	v_fma_f32 v76, 0x3f3d2fb0, v65, -v95
	v_add_f32_e32 v130, v170, v163
	v_add_f32_e32 v178, v182, v179
	;; [unrolled: 1-line block ×4, first 2 shown]
	v_fma_f32 v9, 0x3f3d2fb0, v66, -v100
	v_add_f32_e32 v10, v97, v10
	v_fmac_f32_e32 v95, 0x3f3d2fb0, v65
	v_lshlrev_b32_sdwa v11, v12, v11 dst_sel:DWORD dst_unused:UNUSED_PAD src0_sel:DWORD src1_sel:WORD_0
	v_add_f32_e32 v48, v63, v58
	v_add_f32_e32 v46, v76, v102
	;; [unrolled: 1-line block ×6, first 2 shown]
	ds_write2_b64 v11, v[4:5], v[20:21] offset1:1
	ds_write2_b64 v11, v[48:49], v[105:106] offset0:2 offset1:3
	ds_write2_b64 v11, v[46:47], v[122:123] offset0:4 offset1:5
	;; [unrolled: 1-line block ×7, first 2 shown]
	ds_write_b64 v11, v[81:82] offset:128
.LBB0_7:
	s_or_b32 exec_lo, exec_lo, s4
	v_add_nc_u16 v33, v116, 0x77
	v_and_b32_e32 v4, 0xff, v116
	v_add_co_u32 v6, null, 0x1dc, v116
	v_add_co_u32 v9, null, 0x253, v116
	v_and_b32_e32 v7, 0xff, v33
	v_mul_lo_u16 v8, 0xf1, v4
	v_mov_b32_e32 v10, 0xf0f1
	v_add_co_u32 v5, null, 0xee, v116
	v_mul_lo_u16 v28, 0xf1, v7
	v_add_co_u32 v7, null, 0x2ca, v116
	v_lshrrev_b16 v24, 12, v8
	v_mul_u32_u24_sdwa v12, v6, v10 dst_sel:DWORD dst_unused:UNUSED_PAD src0_sel:WORD_0 src1_sel:DWORD
	v_mul_u32_u24_sdwa v13, v9, v10 dst_sel:DWORD dst_unused:UNUSED_PAD src0_sel:WORD_0 src1_sel:DWORD
	;; [unrolled: 1-line block ×3, first 2 shown]
	v_add_co_u32 v4, null, 0x165, v116
	v_mul_lo_u16 v11, v24, 17
	v_lshrrev_b32_e32 v35, 20, v12
	v_lshrrev_b32_e32 v37, 20, v13
	;; [unrolled: 1-line block ×3, first 2 shown]
	v_lshrrev_b16 v34, 12, v28
	v_sub_nc_u16 v11, v116, v11
	v_mul_lo_u16 v12, v35, 17
	v_mul_lo_u16 v14, v37, 17
	;; [unrolled: 1-line block ×3, first 2 shown]
	v_mov_b32_e32 v32, 3
	v_and_b32_e32 v36, 0xff, v11
	v_sub_nc_u16 v39, v6, v12
	v_mul_u32_u24_sdwa v6, v5, v10 dst_sel:DWORD dst_unused:UNUSED_PAD src0_sel:WORD_0 src1_sel:DWORD
	v_sub_nc_u16 v40, v9, v14
	v_mul_u32_u24_sdwa v9, v4, v10 dst_sel:DWORD dst_unused:UNUSED_PAD src0_sel:WORD_0 src1_sel:DWORD
	v_sub_nc_u16 v41, v7, v15
	v_mul_lo_u16 v11, v34, 17
	v_lshlrev_b32_e32 v13, 3, v36
	v_lshlrev_b32_sdwa v7, v32, v39 dst_sel:DWORD dst_unused:UNUSED_PAD src0_sel:DWORD src1_sel:WORD_0
	v_lshrrev_b32_e32 v42, 20, v6
	v_lshlrev_b32_sdwa v6, v32, v40 dst_sel:DWORD dst_unused:UNUSED_PAD src0_sel:DWORD src1_sel:WORD_0
	v_lshrrev_b32_e32 v43, 20, v9
	v_lshlrev_b32_sdwa v9, v32, v41 dst_sel:DWORD dst_unused:UNUSED_PAD src0_sel:DWORD src1_sel:WORD_0
	v_sub_nc_u16 v11, v33, v11
	s_load_dwordx4 s[4:7], s[2:3], 0x0
	s_waitcnt lgkmcnt(0)
	s_barrier
	buffer_gl0_inv
	s_clause 0x3
	global_load_dwordx2 v[85:86], v7, s[0:1]
	global_load_dwordx2 v[83:84], v9, s[0:1]
	;; [unrolled: 1-line block ×4, first 2 shown]
	v_mul_lo_u16 v6, v42, 17
	v_mul_lo_u16 v7, v43, 17
	v_and_b32_e32 v44, 0xff, v11
	v_lshlrev_b32_sdwa v117, v32, v116 dst_sel:DWORD dst_unused:UNUSED_PAD src0_sel:DWORD src1_sel:WORD_0
	v_lshrrev_b16 v48, 13, v8
	v_sub_nc_u16 v45, v5, v6
	v_sub_nc_u16 v46, v4, v7
	v_lshlrev_b32_e32 v4, 3, v44
	v_add_nc_u32_e32 v97, 0x1400, v117
	v_add_nc_u32_e32 v100, 0x2c00, v117
	v_lshlrev_b32_sdwa v5, v32, v45 dst_sel:DWORD dst_unused:UNUSED_PAD src0_sel:DWORD src1_sel:WORD_0
	v_lshlrev_b32_sdwa v6, v32, v46 dst_sel:DWORD dst_unused:UNUSED_PAD src0_sel:DWORD src1_sel:WORD_0
	s_clause 0x2
	global_load_dwordx2 v[95:96], v4, s[0:1]
	global_load_dwordx2 v[93:94], v5, s[0:1]
	;; [unrolled: 1-line block ×3, first 2 shown]
	v_add_nc_u32_e32 v98, 0x1c00, v117
	v_add_nc_u32_e32 v101, 0x400, v117
	;; [unrolled: 1-line block ×3, first 2 shown]
	ds_read2_b64 v[4:7], v117 offset1:119
	ds_read2_b64 v[8:11], v97 offset0:74 offset1:193
	ds_read2_b64 v[12:15], v98 offset0:56 offset1:175
	;; [unrolled: 1-line block ×4, first 2 shown]
	v_lshrrev_b16 v51, 13, v28
	ds_read2_b64 v[28:31], v100 offset0:20 offset1:139
	v_mov_b32_e32 v47, 34
	v_add_nc_u32_e32 v102, 0xc00, v117
	v_mul_lo_u16 v50, v48, 34
	v_mul_lo_u16 v49, v24, 34
	v_mad_u16 v35, v35, 34, v39
	v_mul_u32_u24_sdwa v34, v34, v47 dst_sel:DWORD dst_unused:UNUSED_PAD src0_sel:WORD_0 src1_sel:DWORD
	ds_read2_b64 v[24:27], v102 offset0:92 offset1:211
	v_sub_nc_u16 v47, v116, v50
	v_mul_lo_u16 v50, v51, 34
	v_and_b32_e32 v49, 0xfe, v49
	v_mad_u16 v37, v37, 34, v40
	v_mad_u16 v38, v38, 34, v41
	v_lshlrev_b32_sdwa v121, v32, v35 dst_sel:DWORD dst_unused:UNUSED_PAD src0_sel:DWORD src1_sel:WORD_0
	v_sub_nc_u16 v39, v33, v50
	v_add_lshl_u32 v125, v34, v44, 3
	v_add_lshl_u32 v124, v49, v36, 3
	v_lshlrev_b32_sdwa v120, v32, v37 dst_sel:DWORD dst_unused:UNUSED_PAD src0_sel:DWORD src1_sel:WORD_0
	v_lshlrev_b32_sdwa v119, v32, v38 dst_sel:DWORD dst_unused:UNUSED_PAD src0_sel:DWORD src1_sel:WORD_0
	v_and_b32_e32 v53, 0xff, v39
	v_mad_u16 v42, v42, 34, v45
	v_mad_u16 v43, v43, 34, v46
	v_and_b32_e32 v52, 0xff, v47
	s_waitcnt vmcnt(0) lgkmcnt(0)
	s_barrier
	v_lshlrev_b32_sdwa v123, v32, v42 dst_sel:DWORD dst_unused:UNUSED_PAD src0_sel:DWORD src1_sel:WORD_0
	v_lshlrev_b32_sdwa v122, v32, v43 dst_sel:DWORD dst_unused:UNUSED_PAD src0_sel:DWORD src1_sel:WORD_0
	v_mad_u64_u32 v[32:33], null, v52, 48, s[0:1]
	buffer_gl0_inv
	v_mov_b32_e32 v49, 0xee
	v_mad_u64_u32 v[56:57], null, v116, 48, s[0:1]
	v_lshlrev_b32_e32 v118, 3, v116
	v_mul_u32_u24_sdwa v54, v48, v49 dst_sel:DWORD dst_unused:UNUSED_PAD src0_sel:WORD_0 src1_sel:DWORD
	v_mul_u32_u24_sdwa v55, v51, v49 dst_sel:DWORD dst_unused:UNUSED_PAD src0_sel:WORD_0 src1_sel:DWORD
	v_add_lshl_u32 v127, v54, v52, 3
	v_add_lshl_u32 v126, v55, v53, 3
	v_mul_f32_e32 v34, v23, v86
	v_mul_f32_e32 v35, v22, v86
	;; [unrolled: 1-line block ×8, first 2 shown]
	v_fma_f32 v22, v22, v85, -v34
	v_fmac_f32_e32 v35, v23, v85
	v_fmac_f32_e32 v39, v31, v83
	v_fma_f32 v23, v28, v87, -v36
	v_fmac_f32_e32 v37, v29, v87
	v_fma_f32 v28, v30, v83, -v38
	v_fma_f32 v30, v10, v89, -v40
	v_fmac_f32_e32 v41, v11, v89
	v_mul_f32_e32 v31, v13, v96
	v_mul_f32_e32 v34, v12, v96
	;; [unrolled: 1-line block ×6, first 2 shown]
	v_sub_f32_e32 v10, v24, v22
	v_sub_f32_e32 v11, v25, v35
	v_fma_f32 v31, v12, v95, -v31
	v_fmac_f32_e32 v34, v13, v95
	v_sub_f32_e32 v22, v26, v23
	v_sub_f32_e32 v23, v27, v37
	v_fma_f32 v35, v14, v93, -v36
	v_fmac_f32_e32 v38, v15, v93
	v_fma_f32 v36, v20, v91, -v40
	v_fmac_f32_e32 v42, v21, v91
	v_sub_f32_e32 v12, v4, v30
	v_sub_f32_e32 v13, v5, v41
	v_fma_f32 v14, v24, 2.0, -v10
	v_fma_f32 v15, v25, 2.0, -v11
	v_sub_f32_e32 v24, v6, v31
	v_sub_f32_e32 v25, v7, v34
	v_fma_f32 v20, v26, 2.0, -v22
	v_fma_f32 v21, v27, 2.0, -v23
	v_sub_f32_e32 v26, v16, v35
	v_sub_f32_e32 v27, v17, v38
	;; [unrolled: 1-line block ×6, first 2 shown]
	v_fma_f32 v4, v4, 2.0, -v12
	v_fma_f32 v5, v5, 2.0, -v13
	;; [unrolled: 1-line block ×10, first 2 shown]
	ds_write2_b64 v124, v[4:5], v[12:13] offset1:17
	ds_write2_b64 v125, v[6:7], v[24:25] offset1:17
	;; [unrolled: 1-line block ×7, first 2 shown]
	v_mad_u64_u32 v[4:5], null, v53, 48, s[0:1]
	s_waitcnt lgkmcnt(0)
	s_barrier
	buffer_gl0_inv
	s_clause 0x5
	global_load_dwordx4 v[24:27], v[32:33], off offset:136
	global_load_dwordx4 v[20:23], v[32:33], off offset:152
	;; [unrolled: 1-line block ×6, first 2 shown]
	ds_read2_b64 v[28:31], v101 offset0:110 offset1:229
	ds_read2_b64 v[32:35], v102 offset0:92 offset1:211
	;; [unrolled: 1-line block ×6, first 2 shown]
	ds_read2_b64 v[52:55], v117 offset1:119
	s_waitcnt vmcnt(0) lgkmcnt(0)
	s_barrier
	buffer_gl0_inv
	v_mul_f32_e32 v58, v29, v25
	v_mul_f32_e32 v59, v28, v25
	v_mul_f32_e32 v60, v33, v27
	v_mul_f32_e32 v61, v32, v27
	v_mul_f32_e32 v62, v37, v21
	v_mul_f32_e32 v63, v36, v21
	v_mul_f32_e32 v66, v45, v17
	v_mul_f32_e32 v67, v44, v17
	v_mul_f32_e32 v68, v49, v19
	v_mul_f32_e32 v69, v48, v19
	v_mul_f32_e32 v64, v41, v23
	v_mul_f32_e32 v65, v40, v23
	v_mul_f32_e32 v70, v31, v13
	v_mul_f32_e32 v71, v30, v13
	v_mul_f32_e32 v72, v35, v15
	v_mul_f32_e32 v73, v34, v15
	v_mul_f32_e32 v74, v39, v9
	v_mul_f32_e32 v75, v38, v9
	v_mul_f32_e32 v78, v47, v5
	v_mul_f32_e32 v79, v46, v5
	v_mul_f32_e32 v103, v51, v7
	v_mul_f32_e32 v104, v50, v7
	v_mul_f32_e32 v76, v43, v11
	v_mul_f32_e32 v77, v42, v11
	v_fma_f32 v28, v28, v24, -v58
	v_fmac_f32_e32 v59, v29, v24
	v_fma_f32 v29, v32, v26, -v60
	v_fmac_f32_e32 v61, v33, v26
	;; [unrolled: 2-line block ×12, first 2 shown]
	v_add_f32_e32 v40, v28, v37
	v_add_f32_e32 v41, v59, v69
	;; [unrolled: 1-line block ×4, first 2 shown]
	v_sub_f32_e32 v28, v28, v37
	v_sub_f32_e32 v37, v59, v69
	;; [unrolled: 1-line block ×4, first 2 shown]
	v_add_f32_e32 v44, v32, v33
	v_add_f32_e32 v45, v63, v65
	v_sub_f32_e32 v32, v33, v32
	v_sub_f32_e32 v33, v65, v63
	v_add_f32_e32 v46, v30, v39
	v_add_f32_e32 v47, v71, v104
	;; [unrolled: 1-line block ×4, first 2 shown]
	v_sub_f32_e32 v30, v30, v39
	v_sub_f32_e32 v39, v71, v104
	;; [unrolled: 1-line block ×4, first 2 shown]
	v_add_f32_e32 v50, v34, v35
	v_add_f32_e32 v51, v75, v77
	v_sub_f32_e32 v34, v35, v34
	v_sub_f32_e32 v35, v77, v75
	v_add_f32_e32 v58, v42, v40
	v_add_f32_e32 v59, v43, v41
	v_sub_f32_e32 v60, v42, v40
	v_sub_f32_e32 v61, v43, v41
	;; [unrolled: 1-line block ×6, first 2 shown]
	v_add_f32_e32 v62, v32, v29
	v_add_f32_e32 v63, v33, v36
	v_sub_f32_e32 v64, v32, v29
	v_sub_f32_e32 v65, v33, v36
	;; [unrolled: 1-line block ×4, first 2 shown]
	v_add_f32_e32 v29, v48, v46
	v_add_f32_e32 v67, v49, v47
	v_sub_f32_e32 v68, v48, v46
	v_sub_f32_e32 v69, v49, v47
	;; [unrolled: 1-line block ×6, first 2 shown]
	v_add_f32_e32 v70, v34, v31
	v_add_f32_e32 v71, v35, v38
	v_sub_f32_e32 v72, v34, v31
	v_sub_f32_e32 v73, v35, v38
	;; [unrolled: 1-line block ×4, first 2 shown]
	v_add_f32_e32 v44, v44, v58
	v_add_f32_e32 v45, v45, v59
	v_sub_f32_e32 v32, v28, v32
	v_sub_f32_e32 v33, v37, v33
	v_add_f32_e32 v58, v62, v28
	v_add_f32_e32 v37, v63, v37
	v_mul_f32_e32 v31, 0x3f4a47b2, v40
	v_mul_f32_e32 v40, 0x3f4a47b2, v41
	;; [unrolled: 1-line block ×8, first 2 shown]
	v_add_f32_e32 v50, v50, v29
	v_add_f32_e32 v51, v51, v67
	v_sub_f32_e32 v34, v30, v34
	v_sub_f32_e32 v35, v39, v35
	v_add_f32_e32 v67, v70, v30
	v_add_f32_e32 v39, v71, v39
	v_mul_f32_e32 v46, 0x3f4a47b2, v46
	v_mul_f32_e32 v47, 0x3f4a47b2, v47
	;; [unrolled: 1-line block ×8, first 2 shown]
	v_add_f32_e32 v28, v52, v44
	v_add_f32_e32 v29, v53, v45
	v_fmamk_f32 v42, v42, 0x3d64c772, v31
	v_fmamk_f32 v43, v43, 0x3d64c772, v40
	v_fma_f32 v41, 0x3f3bfb3b, v60, -v41
	v_fma_f32 v52, 0x3f3bfb3b, v61, -v59
	;; [unrolled: 1-line block ×4, first 2 shown]
	v_fmamk_f32 v59, v32, 0x3eae86e6, v62
	v_fmamk_f32 v60, v33, 0x3eae86e6, v63
	v_fma_f32 v61, 0x3f5ff5aa, v66, -v62
	v_fma_f32 v62, 0x3f5ff5aa, v36, -v63
	;; [unrolled: 1-line block ×4, first 2 shown]
	v_add_f32_e32 v30, v54, v50
	v_add_f32_e32 v31, v55, v51
	v_fmamk_f32 v32, v48, 0x3d64c772, v46
	v_fmamk_f32 v33, v49, 0x3d64c772, v47
	v_fma_f32 v36, 0x3f3bfb3b, v68, -v70
	v_fma_f32 v48, 0x3f3bfb3b, v69, -v71
	;; [unrolled: 1-line block ×4, first 2 shown]
	v_fmamk_f32 v55, v34, 0x3eae86e6, v72
	v_fmamk_f32 v54, v35, 0x3eae86e6, v73
	v_fma_f32 v68, 0xbeae86e6, v34, -v75
	v_fma_f32 v69, 0xbeae86e6, v35, -v76
	v_fmamk_f32 v34, v44, 0xbf955555, v28
	v_fmamk_f32 v35, v45, 0xbf955555, v29
	v_fma_f32 v66, 0x3f5ff5aa, v38, -v73
	v_fma_f32 v65, 0x3f5ff5aa, v74, -v72
	v_fmac_f32_e32 v60, 0x3ee1c552, v37
	v_fmac_f32_e32 v62, 0x3ee1c552, v37
	v_fmac_f32_e32 v64, 0x3ee1c552, v37
	v_fmamk_f32 v37, v50, 0xbf955555, v30
	v_fmamk_f32 v38, v51, 0xbf955555, v31
	v_fmac_f32_e32 v59, 0x3ee1c552, v58
	v_add_f32_e32 v42, v42, v34
	v_add_f32_e32 v43, v43, v35
	v_fmac_f32_e32 v61, 0x3ee1c552, v58
	v_fmac_f32_e32 v63, 0x3ee1c552, v58
	v_fmac_f32_e32 v54, 0x3ee1c552, v39
	v_fmac_f32_e32 v66, 0x3ee1c552, v39
	v_fmac_f32_e32 v69, 0x3ee1c552, v39
	v_add_f32_e32 v39, v41, v34
	v_add_f32_e32 v41, v52, v35
	;; [unrolled: 1-line block ×4, first 2 shown]
	v_fmac_f32_e32 v55, 0x3ee1c552, v67
	v_fmac_f32_e32 v65, 0x3ee1c552, v67
	;; [unrolled: 1-line block ×3, first 2 shown]
	v_add_f32_e32 v58, v32, v37
	v_add_f32_e32 v67, v33, v38
	;; [unrolled: 1-line block ×7, first 2 shown]
	v_sub_f32_e32 v33, v43, v59
	v_add_f32_e32 v34, v64, v44
	v_sub_f32_e32 v35, v45, v63
	v_sub_f32_e32 v36, v39, v62
	v_add_f32_e32 v37, v61, v41
	v_add_f32_e32 v38, v62, v39
	v_sub_f32_e32 v39, v41, v61
	v_sub_f32_e32 v40, v44, v64
	v_add_f32_e32 v41, v63, v45
	v_sub_f32_e32 v42, v42, v60
	v_add_f32_e32 v43, v59, v43
	v_add_f32_e32 v44, v54, v58
	v_sub_f32_e32 v45, v67, v55
	v_add_f32_e32 v46, v69, v52
	v_sub_f32_e32 v47, v53, v68
	v_sub_f32_e32 v48, v50, v66
	v_add_f32_e32 v49, v65, v51
	v_add_f32_e32 v50, v66, v50
	v_sub_f32_e32 v51, v51, v65
	v_sub_f32_e32 v52, v52, v69
	v_add_f32_e32 v53, v68, v53
	v_sub_f32_e32 v54, v58, v54
	v_add_f32_e32 v55, v55, v67
	ds_write2_b64 v127, v[28:29], v[32:33] offset1:34
	ds_write2_b64 v127, v[34:35], v[36:37] offset0:68 offset1:102
	ds_write2_b64 v127, v[38:39], v[40:41] offset0:136 offset1:170
	ds_write_b64 v127, v[42:43] offset:1632
	ds_write2_b64 v126, v[30:31], v[44:45] offset1:34
	ds_write2_b64 v126, v[46:47], v[48:49] offset0:68 offset1:102
	ds_write2_b64 v126, v[50:51], v[52:53] offset0:136 offset1:170
	ds_write_b64 v126, v[54:55] offset:1632
	v_add_co_u32 v28, s0, 0x1800, v56
	v_add_co_ci_u32_e64 v29, s0, 0, v57, s0
	v_add_co_u32 v30, s0, 0x1d38, v56
	v_add_co_ci_u32_e64 v31, s0, 0, v57, s0
	s_waitcnt lgkmcnt(0)
	s_barrier
	buffer_gl0_inv
	s_clause 0x5
	global_load_dwordx4 v[44:47], v[56:57], off offset:1768
	global_load_dwordx4 v[36:39], v[56:57], off offset:1784
	;; [unrolled: 1-line block ×6, first 2 shown]
	ds_read2_b64 v[52:55], v101 offset0:110 offset1:229
	ds_read2_b64 v[56:59], v102 offset0:92 offset1:211
	;; [unrolled: 1-line block ×6, first 2 shown]
	ds_read2_b64 v[76:79], v117 offset1:119
	s_waitcnt vmcnt(5) lgkmcnt(6)
	v_mul_f32_e32 v103, v53, v45
	v_mul_f32_e32 v104, v52, v45
	s_waitcnt lgkmcnt(5)
	v_mul_f32_e32 v105, v57, v47
	v_mul_f32_e32 v106, v56, v47
	s_waitcnt vmcnt(4) lgkmcnt(4)
	v_mul_f32_e32 v107, v61, v37
	v_mul_f32_e32 v108, v60, v37
	s_waitcnt lgkmcnt(3)
	v_mul_f32_e32 v109, v65, v39
	v_mul_f32_e32 v110, v64, v39
	;; [unrolled: 6-line block ×3, first 2 shown]
	s_waitcnt vmcnt(2)
	v_mul_f32_e32 v128, v55, v41
	v_mul_f32_e32 v129, v54, v41
	;; [unrolled: 1-line block ×4, first 2 shown]
	s_waitcnt vmcnt(1)
	v_mul_f32_e32 v132, v63, v33
	v_mul_f32_e32 v133, v62, v33
	s_waitcnt vmcnt(0)
	v_mul_f32_e32 v136, v71, v29
	v_mul_f32_e32 v137, v70, v29
	;; [unrolled: 1-line block ×6, first 2 shown]
	v_fma_f32 v52, v52, v44, -v103
	v_fmac_f32_e32 v104, v53, v44
	v_fma_f32 v53, v56, v46, -v105
	v_fmac_f32_e32 v106, v57, v46
	;; [unrolled: 2-line block ×12, first 2 shown]
	v_add_f32_e32 v64, v52, v61
	v_add_f32_e32 v65, v104, v114
	v_sub_f32_e32 v52, v52, v61
	v_sub_f32_e32 v61, v104, v114
	v_add_f32_e32 v66, v53, v60
	v_add_f32_e32 v67, v106, v112
	v_sub_f32_e32 v53, v53, v60
	v_sub_f32_e32 v60, v106, v112
	;; [unrolled: 4-line block ×3, first 2 shown]
	v_add_f32_e32 v70, v54, v63
	v_add_f32_e32 v71, v129, v139
	;; [unrolled: 1-line block ×4, first 2 shown]
	v_sub_f32_e32 v54, v54, v63
	v_sub_f32_e32 v63, v129, v139
	;; [unrolled: 1-line block ×4, first 2 shown]
	v_add_f32_e32 v74, v58, v59
	v_add_f32_e32 v75, v133, v135
	v_sub_f32_e32 v58, v59, v58
	v_sub_f32_e32 v59, v135, v133
	v_add_f32_e32 v103, v66, v64
	v_add_f32_e32 v104, v67, v65
	v_sub_f32_e32 v105, v66, v64
	v_sub_f32_e32 v106, v67, v65
	;; [unrolled: 1-line block ×5, first 2 shown]
	v_add_f32_e32 v107, v56, v53
	v_add_f32_e32 v108, v57, v60
	v_sub_f32_e32 v109, v56, v53
	v_sub_f32_e32 v110, v57, v60
	;; [unrolled: 1-line block ×4, first 2 shown]
	v_add_f32_e32 v53, v72, v70
	v_add_f32_e32 v112, v73, v71
	v_sub_f32_e32 v66, v68, v66
	v_sub_f32_e32 v57, v61, v57
	;; [unrolled: 1-line block ×8, first 2 shown]
	v_add_f32_e32 v128, v58, v55
	v_add_f32_e32 v129, v59, v62
	v_sub_f32_e32 v130, v58, v55
	v_sub_f32_e32 v131, v59, v62
	;; [unrolled: 1-line block ×6, first 2 shown]
	v_add_f32_e32 v68, v68, v103
	v_add_f32_e32 v69, v69, v104
	;; [unrolled: 1-line block ×3, first 2 shown]
	v_mul_f32_e32 v58, 0x3f4a47b2, v64
	v_mul_f32_e32 v59, 0x3f4a47b2, v65
	;; [unrolled: 1-line block ×6, first 2 shown]
	v_add_f32_e32 v74, v74, v53
	v_add_f32_e32 v75, v75, v112
	v_sub_f32_e32 v56, v52, v56
	v_add_f32_e32 v61, v108, v61
	v_mul_f32_e32 v64, 0x3d64c772, v66
	v_mul_f32_e32 v108, 0x3f5ff5aa, v111
	v_add_f32_e32 v54, v128, v54
	v_add_f32_e32 v63, v129, v63
	v_mul_f32_e32 v70, 0x3f4a47b2, v70
	v_mul_f32_e32 v71, 0x3f4a47b2, v71
	;; [unrolled: 1-line block ×8, first 2 shown]
	s_waitcnt lgkmcnt(0)
	v_add_f32_e32 v52, v76, v68
	v_add_f32_e32 v53, v77, v69
	v_fmamk_f32 v66, v66, 0x3d64c772, v58
	v_fmamk_f32 v67, v67, 0x3d64c772, v59
	v_fma_f32 v65, 0x3f3bfb3b, v106, -v65
	v_fma_f32 v76, 0xbf3bfb3b, v105, -v58
	;; [unrolled: 1-line block ×3, first 2 shown]
	v_fmamk_f32 v106, v57, 0x3eae86e6, v107
	v_fma_f32 v60, 0x3f5ff5aa, v60, -v107
	v_fma_f32 v57, 0xbeae86e6, v57, -v109
	v_add_f32_e32 v58, v78, v74
	v_add_f32_e32 v59, v79, v75
	v_fma_f32 v64, 0x3f3bfb3b, v105, -v64
	v_fmamk_f32 v105, v56, 0x3eae86e6, v104
	v_fma_f32 v104, 0x3f5ff5aa, v111, -v104
	v_fma_f32 v56, 0xbeae86e6, v56, -v108
	v_fmamk_f32 v72, v72, 0x3d64c772, v70
	v_fmamk_f32 v73, v73, 0x3d64c772, v71
	v_fma_f32 v78, 0x3f3bfb3b, v113, -v110
	v_fma_f32 v79, 0x3f3bfb3b, v114, -v112
	;; [unrolled: 1-line block ×4, first 2 shown]
	v_fmamk_f32 v107, v132, 0x3eae86e6, v128
	v_fmamk_f32 v108, v133, 0x3eae86e6, v129
	v_fma_f32 v109, 0x3f5ff5aa, v55, -v128
	v_fma_f32 v62, 0x3f5ff5aa, v62, -v129
	;; [unrolled: 1-line block ×4, first 2 shown]
	v_fmamk_f32 v55, v68, 0xbf955555, v52
	v_fmamk_f32 v68, v69, 0xbf955555, v53
	v_fmac_f32_e32 v106, 0x3ee1c552, v61
	v_fmac_f32_e32 v60, 0x3ee1c552, v61
	;; [unrolled: 1-line block ×3, first 2 shown]
	v_fmamk_f32 v61, v74, 0xbf955555, v58
	v_fmamk_f32 v69, v75, 0xbf955555, v59
	v_fmac_f32_e32 v105, 0x3ee1c552, v103
	v_fmac_f32_e32 v104, 0x3ee1c552, v103
	;; [unrolled: 1-line block ×9, first 2 shown]
	v_add_f32_e32 v63, v66, v55
	v_add_f32_e32 v74, v67, v68
	;; [unrolled: 1-line block ×13, first 2 shown]
	v_sub_f32_e32 v55, v74, v105
	v_add_f32_e32 v68, v57, v66
	v_sub_f32_e32 v69, v67, v56
	v_sub_f32_e32 v70, v64, v60
	v_add_f32_e32 v71, v104, v65
	v_add_f32_e32 v64, v60, v64
	v_sub_f32_e32 v65, v65, v104
	v_sub_f32_e32 v66, v66, v57
	v_add_f32_e32 v67, v56, v67
	v_sub_f32_e32 v56, v63, v106
	v_add_f32_e32 v57, v105, v74
	v_add_f32_e32 v76, v108, v103
	v_sub_f32_e32 v77, v112, v107
	v_add_f32_e32 v78, v111, v61
	v_sub_f32_e32 v79, v114, v110
	v_sub_f32_e32 v72, v75, v62
	v_add_f32_e32 v73, v109, v113
	v_add_f32_e32 v74, v62, v75
	v_sub_f32_e32 v75, v113, v109
	v_sub_f32_e32 v60, v61, v111
	v_add_f32_e32 v61, v110, v114
	v_sub_f32_e32 v62, v103, v108
	v_add_f32_e32 v63, v107, v112
	ds_write2_b64 v117, v[52:53], v[58:59] offset1:119
	ds_write2_b64 v101, v[54:55], v[76:77] offset0:110 offset1:229
	ds_write2_b64 v102, v[68:69], v[78:79] offset0:92 offset1:211
	;; [unrolled: 1-line block ×6, first 2 shown]
	s_waitcnt lgkmcnt(0)
	s_barrier
	buffer_gl0_inv
	s_and_saveexec_b32 s1, vcc_lo
	s_cbranch_execz .LBB0_9
; %bb.8:
	v_add_co_u32 v107, s0, s12, v115
	v_add_co_ci_u32_e64 v108, null, s13, 0, s0
	v_add_nc_u32_e32 v175, 0x800, v118
	v_add_co_u32 v97, s0, 0x3000, v107
	v_add_co_ci_u32_e64 v98, s0, 0, v108, s0
	v_add_co_u32 v99, s0, 0x3410, v107
	v_add_co_ci_u32_e64 v100, s0, 0, v108, s0
	global_load_dwordx2 v[97:98], v[97:98], off offset:1040
	v_add_co_u32 v101, s0, 0x3800, v107
	v_add_co_ci_u32_e64 v102, s0, 0, v108, s0
	v_add_co_u32 v103, s0, 0x4000, v107
	v_add_co_ci_u32_e64 v104, s0, 0, v108, s0
	;; [unrolled: 2-line block ×3, first 2 shown]
	s_clause 0x2
	global_load_dwordx2 v[113:114], v[99:100], off offset:784
	global_load_dwordx2 v[144:145], v[101:102], off offset:1344
	global_load_dwordx2 v[146:147], v[99:100], off offset:1568
	v_add_co_u32 v99, s0, 0x5000, v107
	v_add_co_ci_u32_e64 v100, s0, 0, v108, s0
	v_add_co_u32 v101, s0, 0x5800, v107
	v_add_co_ci_u32_e64 v102, s0, 0, v108, s0
	s_clause 0x8
	global_load_dwordx2 v[148:149], v[103:104], off offset:80
	global_load_dwordx2 v[150:151], v[103:104], off offset:864
	;; [unrolled: 1-line block ×9, first 2 shown]
	v_add_co_u32 v99, s0, 0x6000, v107
	v_add_co_ci_u32_e64 v100, s0, 0, v108, s0
	s_clause 0x3
	global_load_dwordx2 v[166:167], v[101:102], off offset:992
	global_load_dwordx2 v[168:169], v[101:102], off offset:1776
	;; [unrolled: 1-line block ×4, first 2 shown]
	ds_read_b64 v[99:100], v117
	v_add_nc_u32_e32 v176, 0xc00, v118
	v_add_nc_u32_e32 v177, 0x1400, v118
	;; [unrolled: 1-line block ×6, first 2 shown]
	s_waitcnt vmcnt(16) lgkmcnt(0)
	v_mul_f32_e32 v101, v100, v98
	v_mul_f32_e32 v102, v99, v98
	v_fma_f32 v101, v99, v97, -v101
	v_fmac_f32_e32 v102, v100, v97
	ds_write_b64 v117, v[101:102]
	ds_read2_b64 v[97:100], v118 offset0:98 offset1:196
	ds_read2_b64 v[101:104], v175 offset0:38 offset1:136
	;; [unrolled: 1-line block ×8, first 2 shown]
	s_waitcnt vmcnt(15) lgkmcnt(7)
	v_mul_f32_e32 v182, v98, v114
	v_mul_f32_e32 v174, v97, v114
	s_waitcnt vmcnt(13)
	v_mul_f32_e32 v183, v100, v147
	v_mul_f32_e32 v114, v99, v147
	s_waitcnt lgkmcnt(6)
	v_mul_f32_e32 v184, v102, v145
	v_mul_f32_e32 v147, v101, v145
	s_waitcnt vmcnt(12)
	v_mul_f32_e32 v185, v104, v149
	v_mul_f32_e32 v145, v103, v149
	s_waitcnt vmcnt(11) lgkmcnt(5)
	v_mul_f32_e32 v186, v106, v151
	v_mul_f32_e32 v149, v105, v151
	s_waitcnt vmcnt(10)
	v_mul_f32_e32 v187, v108, v153
	v_mul_f32_e32 v151, v107, v153
	s_waitcnt vmcnt(9) lgkmcnt(4)
	;; [unrolled: 6-line block ×6, first 2 shown]
	v_mul_f32_e32 v196, v141, v171
	v_mul_f32_e32 v169, v140, v171
	s_waitcnt vmcnt(0)
	v_mul_f32_e32 v197, v143, v173
	v_mul_f32_e32 v171, v142, v173
	v_fma_f32 v173, v97, v113, -v182
	v_fmac_f32_e32 v174, v98, v113
	v_fma_f32 v113, v99, v146, -v183
	v_fmac_f32_e32 v114, v100, v146
	;; [unrolled: 2-line block ×16, first 2 shown]
	ds_write2_b64 v118, v[173:174], v[113:114] offset0:98 offset1:196
	ds_write2_b64 v175, v[146:147], v[144:145] offset0:38 offset1:136
	;; [unrolled: 1-line block ×8, first 2 shown]
.LBB0_9:
	s_or_b32 exec_lo, exec_lo, s1
	s_waitcnt lgkmcnt(0)
	s_barrier
	buffer_gl0_inv
	s_and_saveexec_b32 s0, vcc_lo
	s_cbranch_execz .LBB0_11
; %bb.10:
	v_add_nc_u32_e32 v0, 0x400, v117
	v_add_nc_u32_e32 v1, 0x800, v117
	;; [unrolled: 1-line block ×3, first 2 shown]
	ds_read2_b64 v[52:55], v117 offset1:98
	v_add_nc_u32_e32 v3, 0x2000, v117
	ds_read2_b64 v[68:71], v0 offset0:68 offset1:166
	ds_read2_b64 v[64:67], v1 offset0:136 offset1:234
	v_add_nc_u32_e32 v0, 0x1800, v117
	v_add_nc_u32_e32 v1, 0x1c00, v117
	;; [unrolled: 1-line block ×3, first 2 shown]
	ds_read2_b64 v[56:59], v2 offset0:76 offset1:174
	ds_read2_b64 v[76:79], v0 offset0:16 offset1:114
	;; [unrolled: 1-line block ×5, first 2 shown]
	ds_read_b64 v[81:82], v117 offset:12544
.LBB0_11:
	s_or_b32 exec_lo, exec_lo, s0
	s_waitcnt lgkmcnt(0)
	s_barrier
	buffer_gl0_inv
	s_and_saveexec_b32 s0, vcc_lo
	s_cbranch_execz .LBB0_13
; %bb.12:
	v_sub_f32_e32 v133, v54, v81
	v_add_f32_e32 v159, v82, v55
	v_sub_f32_e32 v130, v68, v2
	v_add_f32_e32 v158, v3, v69
	v_sub_f32_e32 v128, v70, v0
	v_mul_f32_e32 v110, 0xbf763a35, v133
	v_add_f32_e32 v157, v1, v71
	v_mul_f32_e32 v112, 0x3f06c442, v130
	v_sub_f32_e32 v129, v64, v62
	v_mul_f32_e32 v113, 0x3f2c7751, v128
	v_fmamk_f32 v97, v159, 0xbe8c1d8e, v110
	v_add_f32_e32 v155, v63, v65
	v_fmamk_f32 v98, v158, 0xbf59a7d5, v112
	v_sub_f32_e32 v131, v66, v60
	v_mul_f32_e32 v109, 0xbf65296c, v129
	v_add_f32_e32 v97, v53, v97
	v_fmamk_f32 v99, v157, 0x3f3d2fb0, v113
	v_sub_f32_e32 v144, v55, v82
	v_add_f32_e32 v156, v61, v67
	v_sub_f32_e32 v132, v56, v74
	v_add_f32_e32 v97, v98, v97
	v_add_f32_e32 v135, v81, v54
	v_mul_f32_e32 v114, 0xbe3c28d5, v131
	v_fmamk_f32 v98, v155, 0x3ee437d1, v109
	v_sub_f32_e32 v145, v69, v3
	v_add_f32_e32 v97, v99, v97
	v_mul_f32_e32 v167, 0xbf763a35, v144
	v_add_f32_e32 v146, v75, v57
	v_mul_f32_e32 v161, 0x3f7ee86f, v132
	v_fmamk_f32 v99, v156, 0xbf7ba420, v114
	v_add_f32_e32 v97, v98, v97
	v_add_f32_e32 v137, v2, v68
	v_mul_f32_e32 v166, 0x3f06c442, v145
	v_fma_f32 v100, 0xbe8c1d8e, v135, -v167
	v_sub_f32_e32 v147, v71, v1
	v_fmamk_f32 v98, v146, 0x3dbcf732, v161
	v_add_f32_e32 v97, v99, v97
	v_fma_f32 v99, 0xbf59a7d5, v137, -v166
	v_add_f32_e32 v100, v52, v100
	v_add_f32_e32 v138, v0, v70
	v_mul_f32_e32 v160, 0x3f2c7751, v147
	v_sub_f32_e32 v149, v65, v63
	v_sub_f32_e32 v134, v58, v72
	v_add_f32_e32 v97, v98, v97
	v_add_f32_e32 v98, v99, v100
	v_fma_f32 v99, 0x3f3d2fb0, v138, -v160
	v_add_f32_e32 v139, v62, v64
	v_mul_f32_e32 v162, 0xbf65296c, v149
	v_sub_f32_e32 v150, v67, v61
	v_mul_f32_e32 v111, 0xbeb8f4ab, v134
	v_add_f32_e32 v152, v73, v59
	v_add_f32_e32 v98, v99, v98
	v_fma_f32 v99, 0x3ee437d1, v139, -v162
	v_add_f32_e32 v140, v60, v66
	v_mul_f32_e32 v164, 0xbe3c28d5, v150
	v_sub_f32_e32 v151, v57, v75
	v_fmamk_f32 v100, v152, 0x3f6eb680, v111
	v_sub_f32_e32 v136, v76, v78
	v_add_f32_e32 v98, v99, v98
	v_fma_f32 v99, 0xbf7ba420, v140, -v164
	v_add_f32_e32 v141, v74, v56
	v_mul_f32_e32 v165, 0x3f7ee86f, v151
	v_sub_f32_e32 v148, v59, v73
	v_mul_f32_e32 v107, 0xbf4c4adb, v133
	v_add_f32_e32 v97, v100, v97
	v_mul_f32_e32 v163, 0xbf4c4adb, v136
	v_add_f32_e32 v153, v79, v77
	v_add_f32_e32 v98, v99, v98
	v_fma_f32 v99, 0x3dbcf732, v141, -v165
	v_add_f32_e32 v142, v72, v58
	v_mul_f32_e32 v168, 0xbeb8f4ab, v148
	v_fmamk_f32 v100, v159, 0xbf1a4643, v107
	v_mul_f32_e32 v108, 0x3f763a35, v130
	v_fmamk_f32 v101, v153, 0xbf1a4643, v163
	v_add_f32_e32 v99, v99, v98
	v_fma_f32 v102, 0x3f6eb680, v142, -v168
	v_add_f32_e32 v100, v53, v100
	v_fmamk_f32 v103, v158, 0xbe8c1d8e, v108
	v_mul_f32_e32 v169, 0xbeb8f4ab, v128
	v_add_f32_e32 v98, v101, v97
	v_add_f32_e32 v97, v102, v99
	v_mul_f32_e32 v170, 0xbf06c442, v129
	v_add_f32_e32 v99, v103, v100
	v_fmamk_f32 v100, v157, 0x3f6eb680, v169
	v_mul_f32_e32 v171, 0xbf4c4adb, v144
	v_mul_f32_e32 v172, 0x3f7ee86f, v131
	;; [unrolled: 1-line block ×4, first 2 shown]
	v_add_f32_e32 v99, v100, v99
	v_fmamk_f32 v100, v155, 0xbf59a7d5, v170
	v_fma_f32 v101, 0xbf1a4643, v135, -v171
	v_fma_f32 v102, 0xbe8c1d8e, v137, -v174
	v_mul_f32_e32 v176, 0xbeb8f4ab, v147
	v_mul_f32_e32 v177, 0xbe3c28d5, v134
	v_add_f32_e32 v99, v100, v99
	v_fmamk_f32 v100, v156, 0x3dbcf732, v172
	v_add_f32_e32 v101, v52, v101
	v_mul_f32_e32 v178, 0xbf06c442, v149
	v_sub_f32_e32 v154, v77, v79
	v_mul_f32_e32 v179, 0x3f7ee86f, v150
	v_add_f32_e32 v99, v100, v99
	v_fmamk_f32 v100, v146, 0x3f3d2fb0, v175
	v_add_f32_e32 v101, v102, v101
	v_fma_f32 v102, 0x3f6eb680, v138, -v176
	v_add_f32_e32 v143, v78, v76
	v_mul_f32_e32 v173, 0xbf4c4adb, v154
	v_add_f32_e32 v99, v100, v99
	v_fmamk_f32 v100, v152, 0xbf7ba420, v177
	v_add_f32_e32 v101, v102, v101
	v_fma_f32 v102, 0xbf59a7d5, v139, -v178
	v_mul_f32_e32 v105, 0xbf06c442, v133
	v_mul_f32_e32 v180, 0xbf2c7751, v151
	v_add_f32_e32 v99, v100, v99
	v_fma_f32 v103, 0xbf1a4643, v143, -v173
	v_add_f32_e32 v100, v102, v101
	v_fma_f32 v101, 0x3dbcf732, v140, -v179
	v_mul_f32_e32 v181, 0x3f65296c, v136
	v_fmamk_f32 v102, v159, 0xbf59a7d5, v105
	v_mul_f32_e32 v106, 0x3f65296c, v130
	v_mul_f32_e32 v182, 0xbe3c28d5, v148
	v_add_f32_e32 v100, v101, v100
	v_fma_f32 v101, 0x3f3d2fb0, v141, -v180
	v_add_f32_e32 v97, v103, v97
	v_add_f32_e32 v102, v53, v102
	v_fmamk_f32 v103, v158, 0x3ee437d1, v106
	v_mul_f32_e32 v183, 0xbf7ee86f, v128
	v_fmamk_f32 v104, v153, 0x3ee437d1, v181
	v_add_f32_e32 v101, v101, v100
	v_fma_f32 v184, 0xbf7ba420, v142, -v182
	v_add_f32_e32 v102, v103, v102
	v_fmamk_f32 v103, v157, 0x3dbcf732, v183
	v_mul_f32_e32 v185, 0x3f4c4adb, v129
	v_add_f32_e32 v100, v104, v99
	v_add_f32_e32 v99, v184, v101
	v_mul_f32_e32 v184, 0xbf06c442, v144
	v_add_f32_e32 v101, v103, v102
	v_fmamk_f32 v102, v155, 0xbf1a4643, v185
	v_mul_f32_e32 v186, 0xbeb8f4ab, v131
	v_mul_f32_e32 v188, 0x3f65296c, v145
	v_fma_f32 v103, 0xbf59a7d5, v135, -v184
	v_mul_f32_e32 v189, 0xbe3c28d5, v132
	v_add_f32_e32 v101, v102, v101
	v_fmamk_f32 v102, v156, 0x3f6eb680, v186
	v_fma_f32 v104, 0x3ee437d1, v137, -v188
	v_add_f32_e32 v103, v52, v103
	v_mul_f32_e32 v190, 0xbf7ee86f, v147
	v_fmac_f32_e32 v184, 0xbf59a7d5, v135
	v_add_f32_e32 v101, v102, v101
	v_fmamk_f32 v102, v146, 0xbf7ba420, v189
	v_mul_f32_e32 v191, 0x3f2c7751, v134
	v_add_f32_e32 v103, v104, v103
	v_fma_f32 v104, 0x3dbcf732, v138, -v190
	v_mul_f32_e32 v192, 0x3f4c4adb, v149
	v_add_f32_e32 v184, v52, v184
	v_fmac_f32_e32 v188, 0x3ee437d1, v137
	v_mul_f32_e32 v187, 0x3f65296c, v154
	v_add_f32_e32 v101, v102, v101
	v_fmamk_f32 v102, v152, 0x3f3d2fb0, v191
	v_add_f32_e32 v103, v104, v103
	v_fma_f32 v104, 0xbf1a4643, v139, -v192
	v_mul_f32_e32 v194, 0xbeb8f4ab, v150
	v_add_f32_e32 v184, v188, v184
	v_fmac_f32_e32 v190, 0x3dbcf732, v138
	v_fma_f32 v193, 0x3ee437d1, v143, -v187
	v_add_f32_e32 v101, v102, v101
	v_add_f32_e32 v102, v104, v103
	v_fma_f32 v103, 0x3f6eb680, v140, -v194
	v_mul_f32_e32 v195, 0xbe3c28d5, v151
	v_fma_f32 v107, 0xbf1a4643, v159, -v107
	v_add_f32_e32 v184, v190, v184
	v_fmac_f32_e32 v192, 0xbf1a4643, v139
	v_add_f32_e32 v99, v193, v99
	v_mul_f32_e32 v193, 0xbe3c28d5, v133
	v_mul_f32_e32 v196, 0xbf763a35, v136
	v_add_f32_e32 v102, v103, v102
	v_fma_f32 v103, 0xbf7ba420, v141, -v195
	v_mul_f32_e32 v198, 0x3f2c7751, v148
	v_add_f32_e32 v107, v53, v107
	v_fma_f32 v108, 0xbe8c1d8e, v158, -v108
	v_add_f32_e32 v184, v192, v184
	v_fmac_f32_e32 v194, 0x3f6eb680, v140
	v_fmamk_f32 v104, v159, 0xbf7ba420, v193
	v_mul_f32_e32 v197, 0x3eb8f4ab, v130
	v_fmamk_f32 v201, v153, 0xbe8c1d8e, v196
	v_add_f32_e32 v103, v103, v102
	v_fma_f32 v202, 0x3f3d2fb0, v142, -v198
	v_add_f32_e32 v107, v108, v107
	v_fma_f32 v169, 0x3f6eb680, v157, -v169
	v_add_f32_e32 v184, v194, v184
	v_fmac_f32_e32 v195, 0xbf7ba420, v141
	v_fmac_f32_e32 v171, 0xbf1a4643, v135
	v_add_f32_e32 v104, v53, v104
	v_fmamk_f32 v199, v158, 0x3f6eb680, v197
	v_mul_f32_e32 v200, 0xbf06c442, v128
	v_add_f32_e32 v102, v201, v101
	v_add_f32_e32 v101, v202, v103
	v_mul_f32_e32 v202, 0xbf763a35, v154
	v_add_f32_e32 v107, v169, v107
	v_fma_f32 v169, 0xbf59a7d5, v155, -v170
	v_add_f32_e32 v170, v195, v184
	v_fmac_f32_e32 v198, 0x3f3d2fb0, v142
	v_add_f32_e32 v171, v52, v171
	v_fmac_f32_e32 v174, 0xbe8c1d8e, v137
	v_add_f32_e32 v104, v199, v104
	v_fmamk_f32 v199, v157, 0xbf59a7d5, v200
	v_mul_f32_e32 v203, 0x3f2c7751, v129
	v_mul_f32_e32 v103, 0xbe3c28d5, v144
	v_fma_f32 v209, 0xbe8c1d8e, v143, -v202
	v_add_f32_e32 v107, v169, v107
	v_fma_f32 v169, 0x3dbcf732, v156, -v172
	v_add_f32_e32 v170, v198, v170
	v_fmac_f32_e32 v202, 0xbe8c1d8e, v143
	v_add_f32_e32 v171, v174, v171
	v_fmac_f32_e32 v176, 0x3f6eb680, v138
	v_add_f32_e32 v104, v199, v104
	v_fmamk_f32 v199, v155, 0x3f3d2fb0, v203
	v_mul_f32_e32 v201, 0xbf4c4adb, v131
	v_fma_f32 v204, 0xbf7ba420, v135, -v103
	v_mul_f32_e32 v205, 0x3eb8f4ab, v145
	v_add_f32_e32 v169, v169, v107
	v_add_f32_e32 v107, v202, v170
	v_fma_f32 v110, 0xbe8c1d8e, v159, -v110
	v_add_f32_e32 v170, v176, v171
	v_fmac_f32_e32 v178, 0xbf59a7d5, v139
	v_add_f32_e32 v104, v199, v104
	v_fmamk_f32 v199, v156, 0xbf1a4643, v201
	v_mul_f32_e32 v206, 0x3f65296c, v132
	v_add_f32_e32 v204, v52, v204
	v_fma_f32 v207, 0x3f6eb680, v137, -v205
	v_mul_f32_e32 v208, 0xbf06c442, v147
	v_add_f32_e32 v110, v53, v110
	v_fma_f32 v112, 0xbf59a7d5, v158, -v112
	v_add_f32_e32 v170, v178, v170
	v_fmac_f32_e32 v179, 0x3dbcf732, v140
	v_add_f32_e32 v104, v199, v104
	v_fmamk_f32 v199, v146, 0x3ee437d1, v206
	v_add_f32_e32 v204, v207, v204
	v_fma_f32 v207, 0xbf59a7d5, v138, -v208
	v_mul_f32_e32 v210, 0x3f2c7751, v149
	v_add_f32_e32 v112, v112, v110
	v_fma_f32 v113, 0x3f3d2fb0, v157, -v113
	v_add_f32_e32 v170, v179, v170
	v_fmac_f32_e32 v180, 0x3f3d2fb0, v141
	v_fmac_f32_e32 v167, 0xbe8c1d8e, v135
	v_add_f32_e32 v104, v199, v104
	v_add_f32_e32 v199, v207, v204
	v_fma_f32 v204, 0x3f3d2fb0, v139, -v210
	v_mul_f32_e32 v207, 0xbf4c4adb, v150
	v_fma_f32 v193, 0xbf7ba420, v159, -v193
	v_add_f32_e32 v112, v113, v112
	v_fma_f32 v109, 0x3ee437d1, v155, -v109
	v_add_f32_e32 v113, v180, v170
	v_fmac_f32_e32 v182, 0xbf7ba420, v142
	v_add_f32_e32 v167, v52, v167
	v_fmac_f32_e32 v166, 0xbf59a7d5, v137
	v_add_f32_e32 v199, v204, v199
	v_fma_f32 v204, 0xbf1a4643, v140, -v207
	v_mul_f32_e32 v213, 0x3f65296c, v151
	v_add_f32_e32 v193, v53, v193
	v_fma_f32 v197, 0x3f6eb680, v158, -v197
	v_add_f32_e32 v109, v109, v112
	v_fma_f32 v112, 0xbf7ba420, v156, -v114
	v_add_f32_e32 v113, v182, v113
	v_fmac_f32_e32 v187, 0x3ee437d1, v143
	v_add_f32_e32 v114, v166, v167
	v_fmac_f32_e32 v160, 0x3f3d2fb0, v138
	v_mul_f32_e32 v166, 0x3dbcf732, v159
	v_add_f32_e32 v199, v204, v199
	v_fma_f32 v204, 0x3ee437d1, v141, -v213
	v_add_f32_e32 v193, v197, v193
	v_fma_f32 v197, 0xbf59a7d5, v157, -v200
	v_mul_f32_e32 v200, 0xbf763a35, v148
	v_fmac_f32_e32 v103, 0xbf7ba420, v135
	v_add_f32_e32 v112, v112, v109
	v_fma_f32 v161, 0x3dbcf732, v146, -v161
	v_add_f32_e32 v109, v187, v113
	v_add_f32_e32 v113, v160, v114
	v_fmac_f32_e32 v162, 0x3ee437d1, v139
	v_fmamk_f32 v114, v133, 0x3f7ee86f, v166
	v_mul_f32_e32 v167, 0xbf7ba420, v158
	v_add_f32_e32 v199, v204, v199
	v_add_f32_e32 v193, v197, v193
	v_fma_f32 v197, 0x3f3d2fb0, v155, -v203
	v_fma_f32 v203, 0xbe8c1d8e, v142, -v200
	v_mul_f32_e32 v204, 0x3f7ee86f, v154
	v_add_f32_e32 v103, v52, v103
	v_fmac_f32_e32 v205, 0x3f6eb680, v137
	v_fma_f32 v172, 0x3f3d2fb0, v146, -v175
	v_add_f32_e32 v112, v161, v112
	v_fma_f32 v111, 0x3f6eb680, v152, -v111
	v_add_f32_e32 v113, v162, v113
	v_fmac_f32_e32 v164, 0xbf7ba420, v140
	v_add_f32_e32 v114, v53, v114
	v_fmamk_f32 v160, v130, 0x3e3c28d5, v167
	v_mul_f32_e32 v162, 0xbe8c1d8e, v157
	v_add_f32_e32 v193, v197, v193
	v_fma_f32 v197, 0xbf1a4643, v156, -v201
	v_add_f32_e32 v199, v203, v199
	v_fma_f32 v201, 0x3dbcf732, v143, -v204
	v_add_f32_e32 v203, v205, v103
	v_fmac_f32_e32 v208, 0xbf59a7d5, v138
	v_fma_f32 v105, 0xbf59a7d5, v159, -v105
	v_add_f32_e32 v169, v172, v169
	v_fma_f32 v171, 0xbf7ba420, v152, -v177
	v_add_f32_e32 v111, v111, v112
	v_add_f32_e32 v112, v164, v113
	v_fmac_f32_e32 v165, 0x3dbcf732, v141
	v_add_f32_e32 v113, v160, v114
	v_fmamk_f32 v114, v128, 0xbf763a35, v162
	v_mul_f32_e32 v164, 0x3f6eb680, v155
	v_add_f32_e32 v103, v201, v199
	v_add_f32_e32 v199, v208, v203
	v_fmac_f32_e32 v210, 0x3f3d2fb0, v139
	v_add_f32_e32 v105, v53, v105
	v_fma_f32 v106, 0x3ee437d1, v158, -v106
	v_add_f32_e32 v169, v171, v169
	v_fma_f32 v171, 0x3ee437d1, v153, -v181
	v_fma_f32 v160, 0xbf1a4643, v153, -v163
	v_add_f32_e32 v161, v165, v112
	v_fmac_f32_e32 v168, 0x3f6eb680, v142
	v_add_f32_e32 v113, v114, v113
	v_fmamk_f32 v114, v129, 0xbeb8f4ab, v164
	v_mul_f32_e32 v163, 0x3ee437d1, v156
	v_mul_f32_e32 v165, 0xbf7ee86f, v144
	v_add_f32_e32 v199, v210, v199
	v_fmac_f32_e32 v207, 0xbf1a4643, v140
	v_add_f32_e32 v105, v106, v105
	v_fma_f32 v183, 0x3dbcf732, v157, -v183
	v_add_f32_e32 v110, v171, v169
	v_add_f32_e32 v112, v160, v111
	;; [unrolled: 1-line block ×4, first 2 shown]
	v_fmamk_f32 v114, v131, 0x3f65296c, v163
	v_mul_f32_e32 v168, 0xbf59a7d5, v146
	v_fmamk_f32 v160, v135, 0x3dbcf732, v165
	v_mul_f32_e32 v169, 0xbe3c28d5, v145
	v_add_f32_e32 v199, v207, v199
	v_fmac_f32_e32 v213, 0x3ee437d1, v141
	v_add_f32_e32 v105, v183, v105
	v_fma_f32 v183, 0xbf1a4643, v155, -v185
	v_add_f32_e32 v113, v114, v113
	v_fmamk_f32 v114, v132, 0x3f06c442, v168
	v_mul_f32_e32 v170, 0xbf1a4643, v152
	v_add_f32_e32 v160, v52, v160
	v_fmamk_f32 v161, v137, 0xbf7ba420, v169
	v_mul_f32_e32 v171, 0x3f763a35, v147
	v_add_f32_e32 v185, v213, v199
	v_fmac_f32_e32 v200, 0xbe8c1d8e, v142
	v_add_f32_e32 v105, v183, v105
	v_fma_f32 v183, 0x3f6eb680, v156, -v186
	v_add_f32_e32 v113, v114, v113
	v_fmamk_f32 v114, v134, 0xbf4c4adb, v170
	v_add_f32_e32 v160, v161, v160
	v_fmamk_f32 v161, v138, 0xbe8c1d8e, v171
	v_mul_f32_e32 v172, 0x3eb8f4ab, v149
	v_add_f32_e32 v185, v200, v185
	v_fmac_f32_e32 v204, 0x3dbcf732, v143
	v_add_f32_e32 v183, v183, v105
	v_fma_f32 v186, 0xbf7ba420, v146, -v189
	v_add_f32_e32 v113, v114, v113
	v_mul_f32_e32 v174, 0x3ee437d1, v159
	v_add_f32_e32 v114, v161, v160
	v_fmamk_f32 v160, v139, 0x3f6eb680, v172
	v_mul_f32_e32 v175, 0xbf65296c, v150
	v_add_f32_e32 v105, v204, v185
	v_add_f32_e32 v183, v186, v183
	v_fma_f32 v185, 0x3f3d2fb0, v152, -v191
	v_fmac_f32_e32 v173, 0xbf1a4643, v143
	v_fmamk_f32 v176, v133, 0x3f65296c, v174
	v_mul_f32_e32 v177, 0xbf1a4643, v158
	v_add_f32_e32 v114, v160, v114
	v_fmamk_f32 v160, v140, 0x3ee437d1, v175
	v_mul_f32_e32 v178, 0xbf06c442, v151
	v_add_f32_e32 v183, v185, v183
	v_fma_f32 v185, 0xbe8c1d8e, v153, -v196
	v_add_f32_e32 v111, v173, v111
	v_mul_f32_e32 v173, 0x3f3d2fb0, v153
	v_add_f32_e32 v176, v53, v176
	v_fmamk_f32 v179, v130, 0x3f4c4adb, v177
	v_mul_f32_e32 v180, 0xbf7ba420, v157
	v_add_f32_e32 v114, v160, v114
	v_fmamk_f32 v160, v141, 0xbf59a7d5, v178
	v_mul_f32_e32 v181, 0x3f4c4adb, v148
	v_add_f32_e32 v108, v185, v183
	v_fmamk_f32 v161, v136, 0xbf2c7751, v173
	v_add_f32_e32 v176, v179, v176
	v_fmamk_f32 v179, v128, 0xbe3c28d5, v180
	v_mul_f32_e32 v182, 0xbe8c1d8e, v155
	v_add_f32_e32 v160, v160, v114
	v_fmamk_f32 v183, v142, 0xbf1a4643, v181
	v_add_f32_e32 v114, v161, v113
	v_add_f32_e32 v113, v179, v176
	v_fmamk_f32 v161, v129, 0xbf763a35, v182
	v_mul_f32_e32 v176, 0x3f3d2fb0, v156
	v_add_f32_e32 v160, v183, v160
	v_mul_f32_e32 v183, 0xbf65296c, v144
	v_mul_f32_e32 v179, 0x3f2c7751, v154
	v_add_f32_e32 v113, v161, v113
	v_fmamk_f32 v161, v131, 0xbf2c7751, v176
	v_mul_f32_e32 v184, 0x3f6eb680, v146
	v_fmamk_f32 v186, v135, 0x3ee437d1, v183
	v_mul_f32_e32 v187, 0xbf4c4adb, v145
	v_fmamk_f32 v185, v143, 0x3f3d2fb0, v179
	v_add_f32_e32 v113, v161, v113
	v_fmamk_f32 v161, v132, 0x3eb8f4ab, v184
	v_mul_f32_e32 v188, 0x3dbcf732, v152
	v_add_f32_e32 v186, v52, v186
	v_fmamk_f32 v189, v137, 0xbf1a4643, v187
	v_mul_f32_e32 v190, 0x3e3c28d5, v147
	v_add_f32_e32 v101, v209, v101
	v_mul_f32_e32 v209, 0xbf763a35, v134
	v_add_f32_e32 v193, v197, v193
	v_fma_f32 v197, 0x3ee437d1, v146, -v206
	v_add_f32_e32 v161, v161, v113
	v_fmamk_f32 v191, v134, 0x3f7ee86f, v188
	v_add_f32_e32 v113, v185, v160
	v_add_f32_e32 v160, v189, v186
	v_fmamk_f32 v185, v138, 0xbf7ba420, v190
	v_mul_f32_e32 v186, 0x3f763a35, v149
	v_mul_f32_e32 v212, 0x3f7ee86f, v136
	v_add_f32_e32 v193, v197, v193
	v_fma_f32 v197, 0xbe8c1d8e, v152, -v209
	v_add_f32_e32 v161, v191, v161
	v_mul_f32_e32 v191, 0x3f3d2fb0, v159
	v_add_f32_e32 v160, v185, v160
	v_fmamk_f32 v185, v139, 0xbe8c1d8e, v186
	v_mul_f32_e32 v192, 0x3f2c7751, v150
	v_add_f32_e32 v193, v197, v193
	v_fma_f32 v197, 0x3dbcf732, v153, -v212
	v_fmamk_f32 v194, v133, 0x3f2c7751, v191
	v_mul_f32_e32 v195, 0x3dbcf732, v158
	v_add_f32_e32 v160, v185, v160
	v_fmamk_f32 v185, v140, 0x3f3d2fb0, v192
	v_mul_f32_e32 v196, 0xbeb8f4ab, v151
	v_add_f32_e32 v106, v197, v193
	v_mul_f32_e32 v189, 0xbf59a7d5, v153
	v_add_f32_e32 v194, v53, v194
	v_fmamk_f32 v197, v130, 0x3f7ee86f, v195
	v_mul_f32_e32 v198, 0xbf1a4643, v157
	v_add_f32_e32 v160, v185, v160
	v_fmamk_f32 v185, v141, 0x3f6eb680, v196
	v_mul_f32_e32 v199, 0xbf7ee86f, v148
	v_fmamk_f32 v193, v136, 0x3f06c442, v189
	v_add_f32_e32 v194, v197, v194
	v_fmamk_f32 v197, v128, 0x3f4c4adb, v198
	v_mul_f32_e32 v200, 0xbf7ba420, v155
	v_add_f32_e32 v160, v185, v160
	v_fmamk_f32 v185, v142, 0x3dbcf732, v199
	v_mul_f32_e32 v201, 0xbf2c7751, v144
	v_add_f32_e32 v161, v193, v161
	v_add_f32_e32 v193, v197, v194
	v_fmamk_f32 v194, v129, 0x3e3c28d5, v200
	v_mul_f32_e32 v197, 0xbf59a7d5, v156
	v_add_f32_e32 v160, v185, v160
	v_mul_f32_e32 v185, 0xbf06c442, v154
	v_fmamk_f32 v204, v135, 0x3f3d2fb0, v201
	v_mul_f32_e32 v205, 0xbf7ee86f, v145
	v_fmamk_f32 v211, v152, 0xbe8c1d8e, v209
	v_add_f32_e32 v193, v194, v193
	v_fmamk_f32 v194, v131, 0xbf06c442, v197
	v_mul_f32_e32 v202, 0xbe8c1d8e, v146
	v_fmamk_f32 v203, v143, 0xbf59a7d5, v185
	v_add_f32_e32 v204, v52, v204
	v_fmamk_f32 v207, v137, 0x3dbcf732, v205
	v_mul_f32_e32 v208, 0xbf4c4adb, v147
	v_add_f32_e32 v104, v211, v104
	v_fmamk_f32 v211, v153, 0x3dbcf732, v212
	v_add_f32_e32 v193, v194, v193
	v_fmamk_f32 v194, v132, 0xbf763a35, v202
	v_mul_f32_e32 v206, 0x3ee437d1, v152
	v_add_f32_e32 v160, v203, v160
	v_add_f32_e32 v203, v207, v204
	v_fmamk_f32 v204, v138, 0xbf1a4643, v208
	v_mul_f32_e32 v207, 0xbe3c28d5, v149
	v_mul_f32_e32 v159, 0x3f6eb680, v159
	v_add_f32_e32 v104, v211, v104
	v_add_f32_e32 v193, v194, v193
	v_fmamk_f32 v194, v134, 0xbf65296c, v206
	v_add_f32_e32 v203, v204, v203
	v_fmamk_f32 v204, v139, 0xbf7ba420, v207
	v_mul_f32_e32 v209, 0x3f06c442, v150
	v_fmamk_f32 v211, v133, 0x3eb8f4ab, v159
	v_mul_f32_e32 v158, 0x3f3d2fb0, v158
	v_add_f32_e32 v193, v194, v193
	v_mul_f32_e32 v194, 0x3f6eb680, v153
	v_add_f32_e32 v203, v204, v203
	v_fmamk_f32 v204, v140, 0xbf59a7d5, v209
	v_mul_f32_e32 v212, 0x3f763a35, v151
	v_add_f32_e32 v211, v53, v211
	v_fmamk_f32 v213, v130, 0x3f2c7751, v158
	v_mul_f32_e32 v214, 0x3ee437d1, v157
	v_add_f32_e32 v55, v55, v53
	v_fmamk_f32 v210, v136, 0xbeb8f4ab, v194
	v_add_f32_e32 v157, v204, v203
	v_fmamk_f32 v203, v141, 0xbe8c1d8e, v212
	v_add_f32_e32 v211, v213, v211
	v_fmamk_f32 v213, v128, 0x3f65296c, v214
	v_mul_f32_e32 v155, 0x3dbcf732, v155
	v_add_f32_e32 v55, v69, v55
	v_add_f32_e32 v54, v54, v52
	;; [unrolled: 1-line block ×5, first 2 shown]
	v_fmamk_f32 v210, v129, 0x3f7ee86f, v155
	v_mul_f32_e32 v211, 0xbe8c1d8e, v156
	v_add_f32_e32 v55, v71, v55
	v_add_f32_e32 v54, v68, v54
	v_mul_f32_e32 v146, 0xbf1a4643, v146
	v_add_f32_e32 v193, v210, v193
	v_fmamk_f32 v210, v131, 0x3f763a35, v211
	v_add_f32_e32 v55, v65, v55
	v_add_f32_e32 v54, v70, v54
	v_mul_f32_e32 v144, 0xbeb8f4ab, v144
	v_mul_f32_e32 v65, 0xbf2c7751, v145
	v_add_f32_e32 v69, v210, v193
	v_fmamk_f32 v193, v132, 0x3f4c4adb, v146
	v_add_f32_e32 v55, v67, v55
	v_add_f32_e32 v54, v64, v54
	v_fmamk_f32 v64, v137, 0x3f3d2fb0, v65
	v_mul_f32_e32 v67, 0xbf65296c, v147
	v_add_f32_e32 v68, v193, v69
	v_fmamk_f32 v69, v135, 0x3f6eb680, v144
	v_add_f32_e32 v55, v57, v55
	v_add_f32_e32 v54, v66, v54
	v_mul_f32_e32 v70, 0xbf59a7d5, v152
	v_mul_f32_e32 v66, 0xbf7ee86f, v149
	v_add_f32_e32 v69, v52, v69
	v_add_f32_e32 v55, v59, v55
	v_add_f32_e32 v54, v56, v54
	v_fmamk_f32 v71, v134, 0x3f06c442, v70
	v_fmamk_f32 v59, v139, 0x3dbcf732, v66
	v_add_f32_e32 v57, v64, v69
	v_fmamk_f32 v64, v138, 0x3ee437d1, v67
	v_add_f32_e32 v55, v77, v55
	v_add_f32_e32 v54, v58, v54
	v_mul_f32_e32 v58, 0xbf763a35, v150
	v_add_f32_e32 v56, v71, v68
	v_add_f32_e32 v57, v64, v57
	v_mul_f32_e32 v64, 0xbf7ba420, v153
	;; [unrolled: 3-line block ×3, first 2 shown]
	v_add_f32_e32 v57, v59, v57
	v_fmamk_f32 v59, v140, 0xbe8c1d8e, v58
	v_fmamk_f32 v69, v136, 0x3e3c28d5, v64
	v_add_f32_e32 v71, v73, v55
	v_add_f32_e32 v54, v78, v54
	v_fmac_f32_e32 v166, 0xbf7ee86f, v133
	v_add_f32_e32 v57, v59, v57
	v_fmamk_f32 v59, v141, 0xbf1a4643, v68
	v_add_f32_e32 v55, v69, v56
	v_add_f32_e32 v56, v75, v71
	;; [unrolled: 1-line block ×3, first 2 shown]
	v_fmac_f32_e32 v167, 0xbe3c28d5, v130
	v_add_f32_e32 v57, v59, v57
	v_mul_f32_e32 v59, 0xbf06c442, v148
	v_add_f32_e32 v56, v61, v56
	v_add_f32_e32 v54, v74, v54
	;; [unrolled: 1-line block ×3, first 2 shown]
	v_mul_f32_e32 v71, 0xbe3c28d5, v154
	v_fmamk_f32 v69, v142, 0xbf59a7d5, v59
	v_add_f32_e32 v56, v63, v56
	v_add_f32_e32 v54, v60, v54
	;; [unrolled: 1-line block ×3, first 2 shown]
	v_fmac_f32_e32 v162, 0x3f763a35, v128
	v_add_f32_e32 v57, v69, v57
	v_fmamk_f32 v61, v143, 0xbf7ba420, v71
	v_add_f32_e32 v1, v1, v56
	v_add_f32_e32 v56, v62, v54
	;; [unrolled: 1-line block ×3, first 2 shown]
	v_fmac_f32_e32 v164, 0x3eb8f4ab, v129
	v_add_f32_e32 v54, v61, v57
	v_fma_f32 v57, 0x3dbcf732, v135, -v165
	v_add_f32_e32 v1, v3, v1
	v_add_f32_e32 v0, v0, v56
	v_add_f32_e32 v3, v164, v60
	v_fmac_f32_e32 v163, 0xbf65296c, v131
	v_add_f32_e32 v56, v52, v57
	v_fma_f32 v57, 0xbf7ba420, v137, -v169
	v_add_f32_e32 v0, v2, v0
	v_fmac_f32_e32 v168, 0xbf06c442, v132
	v_add_f32_e32 v2, v163, v3
	v_fmac_f32_e32 v170, 0x3f4c4adb, v134
	v_add_f32_e32 v3, v57, v56
	v_fma_f32 v56, 0xbe8c1d8e, v138, -v171
	v_fmac_f32_e32 v173, 0x3f2c7751, v136
	v_add_f32_e32 v2, v168, v2
	v_fma_f32 v60, 0x3ee437d1, v140, -v175
	v_fma_f32 v61, 0xbf1a4643, v137, -v187
	v_add_f32_e32 v3, v56, v3
	v_fma_f32 v56, 0x3f6eb680, v139, -v172
	v_add_f32_e32 v2, v170, v2
	v_fmac_f32_e32 v191, 0xbf2c7751, v133
	v_fmac_f32_e32 v195, 0xbf7ee86f, v130
	v_fma_f32 v63, 0x3f6eb680, v141, -v196
	v_add_f32_e32 v56, v56, v3
	v_add_f32_e32 v3, v173, v2
	v_fma_f32 v2, 0x3ee437d1, v135, -v183
	v_add_f32_e32 v62, v53, v191
	v_fmac_f32_e32 v174, 0xbf65296c, v133
	v_add_f32_e32 v56, v60, v56
	v_fma_f32 v60, 0xbf59a7d5, v141, -v178
	v_add_f32_e32 v2, v52, v2
	v_fmac_f32_e32 v159, 0xbeb8f4ab, v133
	v_add_f32_e32 v57, v53, v174
	v_fmac_f32_e32 v177, 0xbf4c4adb, v130
	v_add_f32_e32 v56, v60, v56
	v_fma_f32 v60, 0xbf1a4643, v142, -v181
	v_add_f32_e32 v2, v61, v2
	v_fma_f32 v61, 0xbf7ba420, v138, -v190
	v_add_f32_e32 v53, v53, v159
	v_fmac_f32_e32 v158, 0xbf2c7751, v130
	v_add_f32_e32 v56, v60, v56
	v_fma_f32 v60, 0xbe8c1d8e, v139, -v186
	v_add_f32_e32 v2, v61, v2
	v_add_f32_e32 v61, v195, v62
	v_fma_f32 v62, 0x3f3d2fb0, v143, -v179
	v_add_f32_e32 v57, v177, v57
	v_fmac_f32_e32 v180, 0x3e3c28d5, v128
	v_add_f32_e32 v2, v60, v2
	v_fma_f32 v60, 0x3f3d2fb0, v140, -v192
	v_fmac_f32_e32 v198, 0xbf4c4adb, v128
	v_add_f32_e32 v53, v158, v53
	v_fmac_f32_e32 v214, 0xbf65296c, v128
	v_add_f32_e32 v57, v180, v57
	v_add_f32_e32 v60, v60, v2
	;; [unrolled: 1-line block ×3, first 2 shown]
	v_fma_f32 v62, 0x3f3d2fb0, v135, -v201
	v_fmac_f32_e32 v182, 0x3f763a35, v129
	v_add_f32_e32 v61, v198, v61
	v_add_f32_e32 v56, v63, v60
	v_fma_f32 v60, 0x3dbcf732, v142, -v199
	v_fma_f32 v63, 0x3f6eb680, v135, -v144
	v_fmac_f32_e32 v200, 0xbe3c28d5, v129
	v_add_f32_e32 v53, v214, v53
	v_fmac_f32_e32 v155, 0xbf7ee86f, v129
	v_add_f32_e32 v56, v60, v56
	v_fma_f32 v60, 0xbf59a7d5, v143, -v185
	v_mul_f32_e32 v204, 0x3f65296c, v148
	v_add_f32_e32 v57, v182, v57
	v_fmac_f32_e32 v176, 0x3f2c7751, v131
	v_add_f32_e32 v61, v200, v61
	v_add_f32_e32 v56, v60, v56
	;; [unrolled: 1-line block ×3, first 2 shown]
	v_fma_f32 v62, 0x3dbcf732, v137, -v205
	v_add_f32_e32 v52, v52, v63
	v_fma_f32 v63, 0x3f3d2fb0, v137, -v65
	v_fmac_f32_e32 v197, 0x3f06c442, v131
	v_add_f32_e32 v53, v155, v53
	v_add_f32_e32 v60, v62, v60
	v_fma_f32 v62, 0xbf1a4643, v138, -v208
	v_add_f32_e32 v52, v63, v52
	v_fma_f32 v63, 0x3ee437d1, v138, -v67
	v_fmac_f32_e32 v211, 0xbf763a35, v131
	v_fma_f32 v58, 0xbe8c1d8e, v140, -v58
	v_add_f32_e32 v60, v62, v60
	v_fma_f32 v62, 0xbf7ba420, v139, -v207
	v_add_f32_e32 v52, v63, v52
	v_fma_f32 v63, 0x3dbcf732, v139, -v66
	v_fmamk_f32 v215, v142, 0x3ee437d1, v204
	v_add_f32_e32 v57, v176, v57
	v_add_f32_e32 v60, v62, v60
	v_fma_f32 v62, 0xbf59a7d5, v140, -v209
	v_add_f32_e32 v52, v63, v52
	v_fmac_f32_e32 v184, 0xbeb8f4ab, v132
	v_add_f32_e32 v61, v197, v61
	v_fmac_f32_e32 v202, 0x3f763a35, v132
	v_add_f32_e32 v60, v62, v60
	v_fma_f32 v62, 0xbe8c1d8e, v141, -v212
	v_add_f32_e32 v53, v211, v53
	v_fmac_f32_e32 v146, 0xbf4c4adb, v132
	v_add_f32_e32 v52, v58, v52
	v_fma_f32 v58, 0xbf1a4643, v141, -v68
	v_add_f32_e32 v156, v215, v203
	v_mul_f32_e32 v203, 0x3eb8f4ab, v154
	v_add_f32_e32 v57, v184, v57
	v_fmac_f32_e32 v188, 0xbf7ee86f, v134
	v_add_f32_e32 v61, v202, v61
	v_fmac_f32_e32 v206, 0x3f65296c, v134
	v_add_f32_e32 v60, v62, v60
	v_fma_f32 v62, 0x3ee437d1, v142, -v204
	v_add_f32_e32 v53, v146, v53
	v_fmac_f32_e32 v70, 0xbf06c442, v134
	v_add_f32_e32 v52, v58, v52
	v_fma_f32 v58, 0xbf59a7d5, v142, -v59
	v_mul_lo_u16 v59, v116, 17
	v_mov_b32_e32 v63, 3
	v_fmamk_f32 v213, v143, 0x3f6eb680, v203
	v_add_f32_e32 v1, v82, v1
	v_add_f32_e32 v0, v81, v0
	;; [unrolled: 1-line block ×3, first 2 shown]
	v_fmac_f32_e32 v189, 0xbf06c442, v136
	v_add_f32_e32 v61, v206, v61
	v_fmac_f32_e32 v194, 0x3eb8f4ab, v136
	v_add_f32_e32 v60, v62, v60
	v_fma_f32 v62, 0x3f6eb680, v143, -v203
	v_add_f32_e32 v65, v70, v53
	v_fmac_f32_e32 v64, 0xbe3c28d5, v136
	v_add_f32_e32 v58, v58, v52
	v_fma_f32 v66, 0xbf7ba420, v143, -v71
	v_lshlrev_b32_sdwa v63, v63, v59 dst_sel:DWORD dst_unused:UNUSED_PAD src0_sel:DWORD src1_sel:WORD_0
	v_add_f32_e32 v156, v213, v156
	v_add_f32_e32 v57, v189, v57
	;; [unrolled: 1-line block ×6, first 2 shown]
	ds_write2_b64 v63, v[0:1], v[54:55] offset1:1
	ds_write2_b64 v63, v[156:157], v[160:161] offset0:2 offset1:3
	ds_write2_b64 v63, v[113:114], v[111:112] offset0:4 offset1:5
	;; [unrolled: 1-line block ×7, first 2 shown]
	ds_write_b64 v63, v[58:59] offset:128
.LBB0_13:
	s_or_b32 exec_lo, exec_lo, s0
	v_add_nc_u32_e32 v0, 0x1400, v117
	v_add_nc_u32_e32 v1, 0x1c00, v117
	;; [unrolled: 1-line block ×3, first 2 shown]
	s_waitcnt lgkmcnt(0)
	s_barrier
	buffer_gl0_inv
	ds_read2_b64 v[54:57], v0 offset0:74 offset1:193
	ds_read2_b64 v[58:61], v1 offset0:56 offset1:175
	;; [unrolled: 1-line block ×3, first 2 shown]
	v_add_nc_u32_e32 v52, 0x400, v117
	v_add_nc_u32_e32 v3, 0x2c00, v117
	;; [unrolled: 1-line block ×3, first 2 shown]
	ds_read2_b64 v[66:69], v117 offset1:119
	ds_read2_b64 v[70:73], v52 offset0:110 offset1:229
	ds_read2_b64 v[74:77], v3 offset0:20 offset1:139
	;; [unrolled: 1-line block ×3, first 2 shown]
	s_waitcnt lgkmcnt(0)
	s_barrier
	buffer_gl0_inv
	v_mul_f32_e32 v82, v96, v58
	v_mul_f32_e32 v78, v90, v57
	;; [unrolled: 1-line block ×8, first 2 shown]
	v_fmac_f32_e32 v78, v89, v56
	v_fma_f32 v57, v89, v57, -v79
	v_fma_f32 v59, v95, v59, -v82
	v_mul_f32_e32 v82, v86, v65
	v_mul_f32_e32 v56, v86, v64
	v_fmac_f32_e32 v81, v95, v58
	v_fmac_f32_e32 v90, v93, v60
	v_fma_f32 v79, v93, v61, -v94
	v_mul_f32_e32 v86, v88, v75
	v_mul_f32_e32 v58, v88, v74
	;; [unrolled: 1-line block ×4, first 2 shown]
	v_fmac_f32_e32 v96, v91, v62
	v_fma_f32 v89, v91, v63, -v92
	v_fmac_f32_e32 v82, v85, v64
	v_fma_f32 v85, v85, v65, -v56
	v_sub_f32_e32 v56, v66, v78
	v_sub_f32_e32 v57, v67, v57
	v_fma_f32 v75, v87, v75, -v58
	v_fmac_f32_e32 v88, v83, v76
	v_sub_f32_e32 v58, v68, v81
	v_fma_f32 v81, v83, v77, -v60
	v_sub_f32_e32 v59, v69, v59
	v_sub_f32_e32 v64, v70, v90
	;; [unrolled: 1-line block ×3, first 2 shown]
	v_fmac_f32_e32 v86, v87, v74
	v_fma_f32 v60, v66, 2.0, -v56
	v_fma_f32 v61, v67, 2.0, -v57
	v_sub_f32_e32 v66, v72, v96
	v_sub_f32_e32 v67, v73, v89
	v_fma_f32 v62, v68, 2.0, -v58
	v_fma_f32 v63, v69, 2.0, -v59
	;; [unrolled: 1-line block ×3, first 2 shown]
	v_sub_f32_e32 v70, v97, v82
	v_fma_f32 v69, v71, 2.0, -v65
	v_sub_f32_e32 v71, v98, v85
	v_sub_f32_e32 v78, v54, v88
	;; [unrolled: 1-line block ×5, first 2 shown]
	v_fma_f32 v72, v72, 2.0, -v66
	v_fma_f32 v73, v73, 2.0, -v67
	;; [unrolled: 1-line block ×8, first 2 shown]
	ds_write2_b64 v124, v[60:61], v[56:57] offset1:17
	ds_write2_b64 v125, v[62:63], v[58:59] offset1:17
	;; [unrolled: 1-line block ×7, first 2 shown]
	s_waitcnt lgkmcnt(0)
	s_barrier
	buffer_gl0_inv
	ds_read2_b64 v[54:57], v52 offset0:110 offset1:229
	ds_read2_b64 v[58:61], v53 offset0:92 offset1:211
	;; [unrolled: 1-line block ×6, first 2 shown]
	ds_read2_b64 v[81:84], v117 offset1:119
	s_waitcnt lgkmcnt(0)
	s_barrier
	buffer_gl0_inv
	v_mul_f32_e32 v78, v25, v55
	v_mul_f32_e32 v25, v25, v54
	;; [unrolled: 1-line block ×4, first 2 shown]
	v_fmac_f32_e32 v78, v24, v54
	v_fma_f32 v24, v24, v55, -v25
	v_fmac_f32_e32 v79, v26, v58
	v_fma_f32 v25, v26, v59, -v27
	v_mul_f32_e32 v26, v21, v63
	v_mul_f32_e32 v21, v21, v62
	;; [unrolled: 1-line block ×5, first 2 shown]
	v_fmac_f32_e32 v26, v20, v62
	v_fma_f32 v20, v20, v63, -v21
	v_fmac_f32_e32 v27, v22, v66
	v_fma_f32 v21, v22, v67, -v23
	v_mul_f32_e32 v17, v17, v70
	v_mul_f32_e32 v22, v19, v75
	v_mul_f32_e32 v19, v19, v74
	v_mul_f32_e32 v23, v13, v57
	v_mul_f32_e32 v13, v13, v56
	v_mul_f32_e32 v55, v9, v65
	v_mul_f32_e32 v9, v9, v64
	v_fmac_f32_e32 v54, v16, v70
	v_fma_f32 v16, v16, v71, -v17
	v_fmac_f32_e32 v22, v18, v74
	v_fma_f32 v17, v18, v75, -v19
	;; [unrolled: 2-line block ×3, first 2 shown]
	v_mul_f32_e32 v19, v15, v61
	v_mul_f32_e32 v12, v15, v60
	v_fmac_f32_e32 v55, v8, v64
	v_fma_f32 v58, v8, v65, -v9
	v_mul_f32_e32 v8, v11, v68
	v_mul_f32_e32 v59, v5, v73
	;; [unrolled: 1-line block ×4, first 2 shown]
	v_fmac_f32_e32 v19, v14, v60
	v_fma_f32 v57, v14, v61, -v12
	v_mul_f32_e32 v60, v7, v77
	v_mul_f32_e32 v7, v7, v76
	v_fma_f32 v61, v10, v69, -v8
	v_fmac_f32_e32 v59, v4, v72
	v_fma_f32 v62, v4, v73, -v5
	v_add_f32_e32 v4, v78, v22
	v_add_f32_e32 v5, v24, v17
	;; [unrolled: 1-line block ×4, first 2 shown]
	v_fmac_f32_e32 v56, v10, v68
	v_fmac_f32_e32 v60, v6, v76
	v_fma_f32 v63, v6, v77, -v7
	v_sub_f32_e32 v6, v78, v22
	v_sub_f32_e32 v7, v24, v17
	;; [unrolled: 1-line block ×4, first 2 shown]
	v_add_f32_e32 v12, v26, v27
	v_add_f32_e32 v13, v20, v21
	v_sub_f32_e32 v14, v27, v26
	v_sub_f32_e32 v15, v21, v20
	v_add_f32_e32 v16, v8, v4
	v_add_f32_e32 v17, v9, v5
	v_sub_f32_e32 v20, v8, v4
	v_sub_f32_e32 v21, v9, v5
	;; [unrolled: 1-line block ×6, first 2 shown]
	v_add_f32_e32 v4, v14, v10
	v_add_f32_e32 v5, v15, v11
	v_sub_f32_e32 v25, v14, v10
	v_sub_f32_e32 v26, v15, v11
	;; [unrolled: 1-line block ×3, first 2 shown]
	v_add_f32_e32 v12, v12, v16
	v_add_f32_e32 v13, v13, v17
	v_sub_f32_e32 v11, v11, v7
	v_sub_f32_e32 v14, v6, v14
	;; [unrolled: 1-line block ×3, first 2 shown]
	v_add_f32_e32 v6, v4, v6
	v_add_f32_e32 v7, v5, v7
	;; [unrolled: 1-line block ×4, first 2 shown]
	v_mul_f32_e32 v16, 0x3f4a47b2, v22
	v_mul_f32_e32 v17, 0x3f4a47b2, v24
	;; [unrolled: 1-line block ×8, first 2 shown]
	v_fmamk_f32 v12, v12, 0xbf955555, v4
	v_fmamk_f32 v13, v13, 0xbf955555, v5
	v_fmamk_f32 v8, v8, 0x3d64c772, v16
	v_fmamk_f32 v9, v9, 0x3d64c772, v17
	v_fma_f32 v22, 0x3f3bfb3b, v20, -v22
	v_fma_f32 v24, 0x3f3bfb3b, v21, -v24
	;; [unrolled: 1-line block ×4, first 2 shown]
	v_fmamk_f32 v20, v14, 0xbeae86e6, v25
	v_fmamk_f32 v21, v15, 0xbeae86e6, v26
	v_fma_f32 v25, 0xbf5ff5aa, v10, -v25
	v_fma_f32 v26, 0xbf5ff5aa, v11, -v26
	;; [unrolled: 1-line block ×4, first 2 shown]
	v_add_f32_e32 v54, v8, v12
	v_add_f32_e32 v64, v9, v13
	;; [unrolled: 1-line block ×6, first 2 shown]
	v_fmac_f32_e32 v20, 0xbee1c552, v6
	v_fmac_f32_e32 v21, 0xbee1c552, v7
	;; [unrolled: 1-line block ×6, first 2 shown]
	v_add_f32_e32 v6, v21, v54
	v_sub_f32_e32 v7, v64, v20
	v_add_f32_e32 v8, v14, v16
	v_sub_f32_e32 v9, v17, v27
	v_sub_f32_e32 v10, v15, v26
	v_add_f32_e32 v11, v25, v22
	v_add_f32_e32 v12, v26, v15
	v_sub_f32_e32 v13, v22, v25
	v_sub_f32_e32 v14, v16, v14
	v_add_f32_e32 v15, v27, v17
	v_sub_f32_e32 v16, v54, v21
	v_add_f32_e32 v17, v20, v64
	v_add_f32_e32 v20, v23, v60
	;; [unrolled: 1-line block ×3, first 2 shown]
	v_sub_f32_e32 v22, v23, v60
	v_add_f32_e32 v23, v19, v59
	v_add_f32_e32 v24, v57, v62
	v_sub_f32_e32 v18, v18, v63
	v_sub_f32_e32 v19, v19, v59
	;; [unrolled: 1-line block ×3, first 2 shown]
	v_add_f32_e32 v26, v55, v56
	v_add_f32_e32 v27, v58, v61
	v_sub_f32_e32 v54, v56, v55
	v_sub_f32_e32 v55, v61, v58
	v_add_f32_e32 v56, v23, v20
	v_add_f32_e32 v57, v24, v21
	v_sub_f32_e32 v58, v23, v20
	v_sub_f32_e32 v59, v24, v21
	;; [unrolled: 1-line block ×6, first 2 shown]
	v_add_f32_e32 v60, v54, v19
	v_add_f32_e32 v61, v55, v25
	v_sub_f32_e32 v62, v54, v19
	v_sub_f32_e32 v63, v55, v25
	;; [unrolled: 1-line block ×3, first 2 shown]
	v_add_f32_e32 v26, v26, v56
	v_add_f32_e32 v27, v27, v57
	v_sub_f32_e32 v25, v25, v18
	v_sub_f32_e32 v54, v22, v54
	;; [unrolled: 1-line block ×3, first 2 shown]
	v_add_f32_e32 v22, v60, v22
	v_add_f32_e32 v56, v61, v18
	;; [unrolled: 1-line block ×4, first 2 shown]
	v_mul_f32_e32 v20, 0x3f4a47b2, v20
	v_mul_f32_e32 v21, 0x3f4a47b2, v21
	;; [unrolled: 1-line block ×8, first 2 shown]
	v_fmamk_f32 v26, v26, 0xbf955555, v18
	v_fmamk_f32 v27, v27, 0xbf955555, v19
	;; [unrolled: 1-line block ×4, first 2 shown]
	v_fma_f32 v57, 0x3f3bfb3b, v58, -v57
	v_fma_f32 v60, 0x3f3bfb3b, v59, -v60
	;; [unrolled: 1-line block ×4, first 2 shown]
	v_fmamk_f32 v58, v54, 0xbeae86e6, v61
	v_fmamk_f32 v59, v55, 0xbeae86e6, v62
	v_fma_f32 v61, 0xbf5ff5aa, v64, -v61
	v_fma_f32 v62, 0xbf5ff5aa, v25, -v62
	;; [unrolled: 1-line block ×4, first 2 shown]
	v_add_f32_e32 v64, v23, v26
	v_add_f32_e32 v65, v24, v27
	;; [unrolled: 1-line block ×6, first 2 shown]
	v_fmac_f32_e32 v58, 0xbee1c552, v22
	v_fmac_f32_e32 v59, 0xbee1c552, v56
	;; [unrolled: 1-line block ×6, first 2 shown]
	v_add_f32_e32 v20, v59, v64
	v_sub_f32_e32 v21, v65, v58
	v_add_f32_e32 v22, v54, v60
	v_sub_f32_e32 v23, v66, v63
	v_sub_f32_e32 v24, v55, v62
	v_add_f32_e32 v25, v61, v57
	v_add_f32_e32 v26, v62, v55
	v_sub_f32_e32 v27, v57, v61
	v_sub_f32_e32 v54, v60, v54
	v_add_f32_e32 v55, v63, v66
	v_sub_f32_e32 v56, v64, v59
	v_add_f32_e32 v57, v58, v65
	ds_write2_b64 v127, v[4:5], v[6:7] offset1:34
	ds_write2_b64 v127, v[8:9], v[10:11] offset0:68 offset1:102
	ds_write2_b64 v127, v[12:13], v[14:15] offset0:136 offset1:170
	ds_write_b64 v127, v[16:17] offset:1632
	ds_write2_b64 v126, v[18:19], v[20:21] offset1:34
	ds_write2_b64 v126, v[22:23], v[24:25] offset0:68 offset1:102
	ds_write2_b64 v126, v[26:27], v[54:55] offset0:136 offset1:170
	ds_write_b64 v126, v[56:57] offset:1632
	s_waitcnt lgkmcnt(0)
	s_barrier
	buffer_gl0_inv
	ds_read2_b64 v[4:7], v52 offset0:110 offset1:229
	ds_read2_b64 v[8:11], v53 offset0:92 offset1:211
	;; [unrolled: 1-line block ×6, first 2 shown]
	ds_read2_b64 v[54:57], v117 offset1:119
	s_waitcnt lgkmcnt(6)
	v_mul_f32_e32 v58, v45, v5
	v_mul_f32_e32 v45, v45, v4
	s_waitcnt lgkmcnt(5)
	v_mul_f32_e32 v59, v47, v9
	v_mul_f32_e32 v47, v47, v8
	v_fmac_f32_e32 v58, v44, v4
	v_fma_f32 v4, v44, v5, -v45
	v_fmac_f32_e32 v59, v46, v8
	v_fma_f32 v5, v46, v9, -v47
	s_waitcnt lgkmcnt(4)
	v_mul_f32_e32 v8, v37, v13
	v_mul_f32_e32 v9, v37, v12
	s_waitcnt lgkmcnt(3)
	v_mul_f32_e32 v37, v39, v17
	v_mul_f32_e32 v39, v39, v16
	s_waitcnt lgkmcnt(2)
	v_mul_f32_e32 v44, v49, v21
	v_fmac_f32_e32 v8, v36, v12
	v_fma_f32 v9, v36, v13, -v9
	v_mul_f32_e32 v13, v49, v20
	v_fma_f32 v12, v38, v17, -v39
	v_fmac_f32_e32 v44, v48, v20
	s_waitcnt lgkmcnt(1)
	v_mul_f32_e32 v17, v51, v24
	v_mul_f32_e32 v20, v41, v7
	;; [unrolled: 1-line block ×3, first 2 shown]
	v_fmac_f32_e32 v37, v38, v16
	v_mul_f32_e32 v16, v51, v25
	v_fma_f32 v13, v48, v21, -v13
	v_fma_f32 v17, v50, v25, -v17
	v_fmac_f32_e32 v20, v40, v6
	v_fma_f32 v21, v40, v7, -v36
	v_mul_f32_e32 v6, v43, v10
	v_mul_f32_e32 v25, v33, v15
	;; [unrolled: 1-line block ×4, first 2 shown]
	v_fmac_f32_e32 v16, v50, v24
	v_mul_f32_e32 v24, v43, v11
	v_fma_f32 v36, v42, v11, -v6
	v_fmac_f32_e32 v25, v32, v14
	v_fma_f32 v32, v32, v15, -v7
	v_fmac_f32_e32 v33, v34, v18
	v_mul_f32_e32 v6, v35, v18
	v_mul_f32_e32 v18, v29, v23
	;; [unrolled: 1-line block ×3, first 2 shown]
	v_fmac_f32_e32 v24, v42, v10
	v_mul_f32_e32 v10, v31, v26
	v_fma_f32 v19, v34, v19, -v6
	v_fmac_f32_e32 v18, v28, v22
	v_fma_f32 v22, v28, v23, -v7
	v_add_f32_e32 v6, v58, v16
	v_add_f32_e32 v7, v4, v17
	;; [unrolled: 1-line block ×4, first 2 shown]
	v_mul_f32_e32 v29, v31, v27
	v_fma_f32 v23, v30, v27, -v10
	v_sub_f32_e32 v10, v58, v16
	v_sub_f32_e32 v4, v4, v17
	;; [unrolled: 1-line block ×4, first 2 shown]
	v_add_f32_e32 v13, v8, v37
	v_add_f32_e32 v16, v9, v12
	v_sub_f32_e32 v8, v37, v8
	v_sub_f32_e32 v9, v12, v9
	v_add_f32_e32 v12, v11, v6
	v_add_f32_e32 v17, v14, v7
	v_fmac_f32_e32 v29, v30, v26
	v_sub_f32_e32 v26, v11, v6
	v_sub_f32_e32 v27, v14, v7
	;; [unrolled: 1-line block ×6, first 2 shown]
	v_add_f32_e32 v28, v8, v15
	v_add_f32_e32 v30, v9, v5
	v_sub_f32_e32 v31, v8, v15
	v_sub_f32_e32 v34, v9, v5
	v_add_f32_e32 v12, v13, v12
	v_add_f32_e32 v13, v16, v17
	v_sub_f32_e32 v8, v10, v8
	v_sub_f32_e32 v9, v4, v9
	;; [unrolled: 1-line block ×4, first 2 shown]
	v_add_f32_e32 v10, v28, v10
	v_add_f32_e32 v17, v30, v4
	s_waitcnt lgkmcnt(0)
	v_add_f32_e32 v4, v54, v12
	v_add_f32_e32 v5, v55, v13
	v_mul_f32_e32 v6, 0x3f4a47b2, v6
	v_mul_f32_e32 v7, 0x3f4a47b2, v7
	;; [unrolled: 1-line block ×8, first 2 shown]
	v_fmamk_f32 v12, v12, 0xbf955555, v4
	v_fmamk_f32 v13, v13, 0xbf955555, v5
	;; [unrolled: 1-line block ×4, first 2 shown]
	v_fma_f32 v28, 0x3f3bfb3b, v26, -v28
	v_fma_f32 v30, 0x3f3bfb3b, v27, -v30
	;; [unrolled: 1-line block ×4, first 2 shown]
	v_fmamk_f32 v26, v8, 0xbeae86e6, v31
	v_fmamk_f32 v27, v9, 0xbeae86e6, v34
	v_fma_f32 v15, 0xbf5ff5aa, v15, -v31
	v_fma_f32 v16, 0xbf5ff5aa, v16, -v34
	;; [unrolled: 1-line block ×4, first 2 shown]
	v_add_f32_e32 v35, v11, v12
	v_add_f32_e32 v37, v14, v13
	;; [unrolled: 1-line block ×4, first 2 shown]
	v_fmac_f32_e32 v26, 0xbee1c552, v10
	v_fmac_f32_e32 v27, 0xbee1c552, v17
	;; [unrolled: 1-line block ×4, first 2 shown]
	v_add_f32_e32 v30, v6, v12
	v_add_f32_e32 v38, v7, v13
	v_fmac_f32_e32 v34, 0xbee1c552, v17
	v_fmac_f32_e32 v31, 0xbee1c552, v10
	v_add_f32_e32 v6, v27, v35
	v_sub_f32_e32 v7, v37, v26
	v_sub_f32_e32 v10, v14, v16
	v_add_f32_e32 v11, v15, v28
	v_add_f32_e32 v12, v16, v14
	v_sub_f32_e32 v13, v28, v15
	v_sub_f32_e32 v16, v35, v27
	v_add_f32_e32 v17, v26, v37
	v_add_f32_e32 v26, v20, v29
	;; [unrolled: 1-line block ×3, first 2 shown]
	v_sub_f32_e32 v21, v21, v23
	v_add_f32_e32 v23, v24, v18
	v_add_f32_e32 v28, v36, v22
	;; [unrolled: 1-line block ×3, first 2 shown]
	v_sub_f32_e32 v9, v38, v31
	v_sub_f32_e32 v14, v30, v34
	v_add_f32_e32 v15, v31, v38
	v_sub_f32_e32 v20, v20, v29
	v_sub_f32_e32 v18, v24, v18
	;; [unrolled: 1-line block ×3, first 2 shown]
	v_add_f32_e32 v24, v25, v33
	v_add_f32_e32 v29, v32, v19
	v_sub_f32_e32 v25, v33, v25
	v_sub_f32_e32 v19, v19, v32
	v_add_f32_e32 v30, v23, v26
	v_add_f32_e32 v31, v28, v27
	v_sub_f32_e32 v32, v23, v26
	v_sub_f32_e32 v33, v28, v27
	;; [unrolled: 1-line block ×6, first 2 shown]
	v_add_f32_e32 v34, v25, v18
	v_add_f32_e32 v35, v19, v22
	v_sub_f32_e32 v36, v25, v18
	v_sub_f32_e32 v37, v19, v22
	v_add_f32_e32 v24, v24, v30
	v_add_f32_e32 v29, v29, v31
	v_sub_f32_e32 v39, v18, v20
	v_sub_f32_e32 v22, v22, v21
	;; [unrolled: 1-line block ×4, first 2 shown]
	v_add_f32_e32 v20, v34, v20
	v_add_f32_e32 v21, v35, v21
	;; [unrolled: 1-line block ×4, first 2 shown]
	v_mul_f32_e32 v26, 0x3f4a47b2, v26
	v_mul_f32_e32 v27, 0x3f4a47b2, v27
	;; [unrolled: 1-line block ×8, first 2 shown]
	v_fmamk_f32 v24, v24, 0xbf955555, v18
	v_fmamk_f32 v29, v29, 0xbf955555, v19
	;; [unrolled: 1-line block ×4, first 2 shown]
	v_fma_f32 v30, 0x3f3bfb3b, v32, -v30
	v_fma_f32 v31, 0x3f3bfb3b, v33, -v31
	;; [unrolled: 1-line block ×4, first 2 shown]
	v_fmamk_f32 v32, v25, 0xbeae86e6, v34
	v_fmamk_f32 v33, v38, 0xbeae86e6, v35
	v_fma_f32 v36, 0x3eae86e6, v25, -v36
	v_fma_f32 v37, 0x3eae86e6, v38, -v37
	;; [unrolled: 1-line block ×4, first 2 shown]
	v_add_f32_e32 v38, v23, v24
	v_add_f32_e32 v39, v28, v29
	v_fmac_f32_e32 v32, 0xbee1c552, v20
	v_fmac_f32_e32 v33, 0xbee1c552, v21
	v_add_f32_e32 v28, v30, v24
	v_add_f32_e32 v30, v31, v29
	;; [unrolled: 1-line block ×4, first 2 shown]
	v_fmac_f32_e32 v37, 0xbee1c552, v21
	v_fmac_f32_e32 v36, 0xbee1c552, v20
	;; [unrolled: 1-line block ×4, first 2 shown]
	v_add_f32_e32 v20, v33, v38
	v_sub_f32_e32 v21, v39, v32
	v_add_f32_e32 v22, v37, v31
	v_sub_f32_e32 v23, v29, v36
	v_sub_f32_e32 v24, v28, v35
	v_add_f32_e32 v25, v34, v30
	v_add_f32_e32 v26, v35, v28
	v_sub_f32_e32 v27, v30, v34
	v_sub_f32_e32 v28, v31, v37
	v_add_f32_e32 v29, v36, v29
	v_sub_f32_e32 v30, v38, v33
	v_add_f32_e32 v31, v32, v39
	ds_write2_b64 v117, v[4:5], v[18:19] offset1:119
	ds_write2_b64 v52, v[6:7], v[20:21] offset0:110 offset1:229
	ds_write2_b64 v53, v[8:9], v[22:23] offset0:92 offset1:211
	;; [unrolled: 1-line block ×6, first 2 shown]
	s_waitcnt lgkmcnt(0)
	s_barrier
	buffer_gl0_inv
	s_and_b32 exec_lo, exec_lo, vcc_lo
	s_cbranch_execz .LBB0_15
; %bb.14:
	global_load_dwordx2 v[0:1], v115, s[12:13]
	ds_read_b64 v[2:3], v117
	s_mov_b32 s0, 0xca869b81
	s_mov_b32 s1, 0x3f43ab2d
	v_mad_u64_u32 v[6:7], null, s4, v116, 0
	s_mul_i32 s2, s5, 0x310
	s_mul_i32 s3, s4, 0x310
	s_waitcnt vmcnt(0) lgkmcnt(0)
	v_mul_f32_e32 v4, v3, v1
	v_mul_f32_e32 v1, v2, v1
	v_fmac_f32_e32 v4, v2, v0
	v_fma_f32 v2, v0, v3, -v1
	v_cvt_f64_f32_e32 v[0:1], v4
	v_cvt_f64_f32_e32 v[2:3], v2
	v_mad_u64_u32 v[4:5], null, s6, v80, 0
	v_mad_u64_u32 v[8:9], null, s7, v80, v[5:6]
	;; [unrolled: 1-line block ×3, first 2 shown]
	v_mov_b32_e32 v5, v8
	s_mul_hi_u32 s5, s4, 0x310
	v_mul_f64 v[0:1], v[0:1], s[0:1]
	v_mul_f64 v[2:3], v[2:3], s[0:1]
	s_add_i32 s2, s5, s2
	v_add_co_u32 v10, s4, s12, v115
	v_mov_b32_e32 v7, v9
	v_add_co_ci_u32_e64 v11, null, s13, 0, s4
	v_cvt_f32_f64_e32 v0, v[0:1]
	v_cvt_f32_f64_e32 v1, v[2:3]
	v_lshlrev_b64 v[2:3], 3, v[4:5]
	v_lshlrev_b64 v[4:5], 3, v[6:7]
	v_add_co_u32 v2, vcc_lo, s14, v2
	v_add_co_ci_u32_e32 v3, vcc_lo, s15, v3, vcc_lo
	v_add_co_u32 v4, vcc_lo, v2, v4
	v_add_co_ci_u32_e32 v5, vcc_lo, v3, v5, vcc_lo
	global_store_dwordx2 v[4:5], v[0:1], off
	global_load_dwordx2 v[6:7], v115, s[12:13] offset:784
	ds_read2_b64 v[0:3], v118 offset0:98 offset1:196
	v_add_co_u32 v4, vcc_lo, v4, s3
	v_add_co_ci_u32_e32 v5, vcc_lo, s2, v5, vcc_lo
	s_waitcnt vmcnt(0) lgkmcnt(0)
	v_mul_f32_e32 v8, v1, v7
	v_mul_f32_e32 v7, v0, v7
	v_fmac_f32_e32 v8, v0, v6
	v_fma_f32 v6, v6, v1, -v7
	v_cvt_f64_f32_e32 v[0:1], v8
	v_cvt_f64_f32_e32 v[6:7], v6
	v_mul_f64 v[0:1], v[0:1], s[0:1]
	v_mul_f64 v[6:7], v[6:7], s[0:1]
	v_cvt_f32_f64_e32 v0, v[0:1]
	v_cvt_f32_f64_e32 v1, v[6:7]
	global_store_dwordx2 v[4:5], v[0:1], off
	global_load_dwordx2 v[0:1], v115, s[12:13] offset:1568
	v_add_co_u32 v4, vcc_lo, v4, s3
	v_add_co_ci_u32_e32 v5, vcc_lo, s2, v5, vcc_lo
	s_waitcnt vmcnt(0)
	v_mul_f32_e32 v6, v3, v1
	v_mul_f32_e32 v1, v2, v1
	v_fmac_f32_e32 v6, v2, v0
	v_fma_f32 v2, v0, v3, -v1
	v_cvt_f64_f32_e32 v[0:1], v6
	v_cvt_f64_f32_e32 v[2:3], v2
	v_add_co_u32 v6, vcc_lo, 0x800, v10
	v_add_co_ci_u32_e32 v7, vcc_lo, 0, v11, vcc_lo
	v_mul_f64 v[0:1], v[0:1], s[0:1]
	v_mul_f64 v[2:3], v[2:3], s[0:1]
	v_cvt_f32_f64_e32 v0, v[0:1]
	v_cvt_f32_f64_e32 v1, v[2:3]
	global_store_dwordx2 v[4:5], v[0:1], off
	global_load_dwordx2 v[8:9], v[6:7], off offset:304
	v_add_nc_u32_e32 v0, 0x800, v118
	v_add_co_u32 v4, vcc_lo, v4, s3
	v_add_co_ci_u32_e32 v5, vcc_lo, s2, v5, vcc_lo
	ds_read2_b64 v[0:3], v0 offset0:38 offset1:136
	s_waitcnt vmcnt(0) lgkmcnt(0)
	v_mul_f32_e32 v12, v1, v9
	v_mul_f32_e32 v9, v0, v9
	v_fmac_f32_e32 v12, v0, v8
	v_fma_f32 v8, v8, v1, -v9
	v_cvt_f64_f32_e32 v[0:1], v12
	v_cvt_f64_f32_e32 v[8:9], v8
	v_mul_f64 v[0:1], v[0:1], s[0:1]
	v_mul_f64 v[8:9], v[8:9], s[0:1]
	v_cvt_f32_f64_e32 v0, v[0:1]
	v_cvt_f32_f64_e32 v1, v[8:9]
	global_store_dwordx2 v[4:5], v[0:1], off
	global_load_dwordx2 v[0:1], v[6:7], off offset:1088
	v_add_co_u32 v4, vcc_lo, v4, s3
	v_add_co_ci_u32_e32 v5, vcc_lo, s2, v5, vcc_lo
	s_waitcnt vmcnt(0)
	v_mul_f32_e32 v8, v3, v1
	v_mul_f32_e32 v1, v2, v1
	v_fmac_f32_e32 v8, v2, v0
	v_fma_f32 v2, v0, v3, -v1
	v_cvt_f64_f32_e32 v[0:1], v8
	v_cvt_f64_f32_e32 v[2:3], v2
	v_mul_f64 v[0:1], v[0:1], s[0:1]
	v_mul_f64 v[2:3], v[2:3], s[0:1]
	v_cvt_f32_f64_e32 v0, v[0:1]
	v_cvt_f32_f64_e32 v1, v[2:3]
	global_store_dwordx2 v[4:5], v[0:1], off
	global_load_dwordx2 v[6:7], v[6:7], off offset:1872
	v_add_nc_u32_e32 v0, 0xc00, v118
	v_add_co_u32 v4, vcc_lo, v4, s3
	v_add_co_ci_u32_e32 v5, vcc_lo, s2, v5, vcc_lo
	ds_read2_b64 v[0:3], v0 offset0:106 offset1:204
	s_waitcnt vmcnt(0) lgkmcnt(0)
	v_mul_f32_e32 v8, v1, v7
	v_mul_f32_e32 v7, v0, v7
	v_fmac_f32_e32 v8, v0, v6
	v_fma_f32 v6, v6, v1, -v7
	v_cvt_f64_f32_e32 v[0:1], v8
	v_cvt_f64_f32_e32 v[6:7], v6
	v_mul_f64 v[0:1], v[0:1], s[0:1]
	v_mul_f64 v[6:7], v[6:7], s[0:1]
	v_cvt_f32_f64_e32 v0, v[0:1]
	v_cvt_f32_f64_e32 v1, v[6:7]
	v_add_co_u32 v6, vcc_lo, 0x1000, v10
	v_add_co_ci_u32_e32 v7, vcc_lo, 0, v11, vcc_lo
	global_store_dwordx2 v[4:5], v[0:1], off
	global_load_dwordx2 v[0:1], v[6:7], off offset:608
	v_add_co_u32 v4, vcc_lo, v4, s3
	v_add_co_ci_u32_e32 v5, vcc_lo, s2, v5, vcc_lo
	s_waitcnt vmcnt(0)
	v_mul_f32_e32 v8, v3, v1
	v_mul_f32_e32 v1, v2, v1
	v_fmac_f32_e32 v8, v2, v0
	v_fma_f32 v2, v0, v3, -v1
	v_cvt_f64_f32_e32 v[0:1], v8
	v_cvt_f64_f32_e32 v[2:3], v2
	v_mul_f64 v[0:1], v[0:1], s[0:1]
	v_mul_f64 v[2:3], v[2:3], s[0:1]
	v_cvt_f32_f64_e32 v0, v[0:1]
	v_cvt_f32_f64_e32 v1, v[2:3]
	global_store_dwordx2 v[4:5], v[0:1], off
	global_load_dwordx2 v[6:7], v[6:7], off offset:1392
	v_add_nc_u32_e32 v0, 0x1400, v118
	v_add_co_u32 v4, vcc_lo, v4, s3
	v_add_co_ci_u32_e32 v5, vcc_lo, s2, v5, vcc_lo
	ds_read2_b64 v[0:3], v0 offset0:46 offset1:144
	s_waitcnt vmcnt(0) lgkmcnt(0)
	v_mul_f32_e32 v8, v1, v7
	v_mul_f32_e32 v7, v0, v7
	v_fmac_f32_e32 v8, v0, v6
	v_fma_f32 v6, v6, v1, -v7
	v_cvt_f64_f32_e32 v[0:1], v8
	v_cvt_f64_f32_e32 v[6:7], v6
	v_mul_f64 v[0:1], v[0:1], s[0:1]
	v_mul_f64 v[6:7], v[6:7], s[0:1]
	v_cvt_f32_f64_e32 v0, v[0:1]
	v_cvt_f32_f64_e32 v1, v[6:7]
	v_add_co_u32 v6, vcc_lo, 0x1800, v10
	v_add_co_ci_u32_e32 v7, vcc_lo, 0, v11, vcc_lo
	global_store_dwordx2 v[4:5], v[0:1], off
	global_load_dwordx2 v[0:1], v[6:7], off offset:128
	v_add_co_u32 v4, vcc_lo, v4, s3
	v_add_co_ci_u32_e32 v5, vcc_lo, s2, v5, vcc_lo
	s_waitcnt vmcnt(0)
	v_mul_f32_e32 v8, v3, v1
	v_mul_f32_e32 v1, v2, v1
	v_fmac_f32_e32 v8, v2, v0
	v_fma_f32 v2, v0, v3, -v1
	v_cvt_f64_f32_e32 v[0:1], v8
	v_cvt_f64_f32_e32 v[2:3], v2
	v_mul_f64 v[0:1], v[0:1], s[0:1]
	v_mul_f64 v[2:3], v[2:3], s[0:1]
	v_cvt_f32_f64_e32 v0, v[0:1]
	v_cvt_f32_f64_e32 v1, v[2:3]
	global_store_dwordx2 v[4:5], v[0:1], off
	global_load_dwordx2 v[8:9], v[6:7], off offset:912
	v_add_nc_u32_e32 v0, 0x1800, v118
	v_add_co_u32 v4, vcc_lo, v4, s3
	v_add_co_ci_u32_e32 v5, vcc_lo, s2, v5, vcc_lo
	ds_read2_b64 v[0:3], v0 offset0:114 offset1:212
	s_waitcnt vmcnt(0) lgkmcnt(0)
	v_mul_f32_e32 v12, v1, v9
	v_mul_f32_e32 v9, v0, v9
	v_fmac_f32_e32 v12, v0, v8
	v_fma_f32 v8, v8, v1, -v9
	v_cvt_f64_f32_e32 v[0:1], v12
	v_cvt_f64_f32_e32 v[8:9], v8
	v_mul_f64 v[0:1], v[0:1], s[0:1]
	v_mul_f64 v[8:9], v[8:9], s[0:1]
	v_cvt_f32_f64_e32 v0, v[0:1]
	v_cvt_f32_f64_e32 v1, v[8:9]
	global_store_dwordx2 v[4:5], v[0:1], off
	global_load_dwordx2 v[0:1], v[6:7], off offset:1696
	v_add_co_u32 v4, vcc_lo, v4, s3
	v_add_co_ci_u32_e32 v5, vcc_lo, s2, v5, vcc_lo
	s_waitcnt vmcnt(0)
	v_mul_f32_e32 v6, v3, v1
	v_mul_f32_e32 v1, v2, v1
	v_fmac_f32_e32 v6, v2, v0
	v_fma_f32 v2, v0, v3, -v1
	v_cvt_f64_f32_e32 v[0:1], v6
	v_cvt_f64_f32_e32 v[2:3], v2
	v_add_co_u32 v6, vcc_lo, 0x2000, v10
	v_add_co_ci_u32_e32 v7, vcc_lo, 0, v11, vcc_lo
	v_mul_f64 v[0:1], v[0:1], s[0:1]
	v_mul_f64 v[2:3], v[2:3], s[0:1]
	v_cvt_f32_f64_e32 v0, v[0:1]
	v_cvt_f32_f64_e32 v1, v[2:3]
	global_store_dwordx2 v[4:5], v[0:1], off
	global_load_dwordx2 v[8:9], v[6:7], off offset:432
	v_add_nc_u32_e32 v0, 0x2000, v118
	v_add_co_u32 v4, vcc_lo, v4, s3
	v_add_co_ci_u32_e32 v5, vcc_lo, s2, v5, vcc_lo
	ds_read2_b64 v[0:3], v0 offset0:54 offset1:152
	s_waitcnt vmcnt(0) lgkmcnt(0)
	v_mul_f32_e32 v12, v1, v9
	v_mul_f32_e32 v9, v0, v9
	v_fmac_f32_e32 v12, v0, v8
	v_fma_f32 v8, v8, v1, -v9
	v_cvt_f64_f32_e32 v[0:1], v12
	v_cvt_f64_f32_e32 v[8:9], v8
	v_mul_f64 v[0:1], v[0:1], s[0:1]
	v_mul_f64 v[8:9], v[8:9], s[0:1]
	v_cvt_f32_f64_e32 v0, v[0:1]
	v_cvt_f32_f64_e32 v1, v[8:9]
	global_store_dwordx2 v[4:5], v[0:1], off
	global_load_dwordx2 v[0:1], v[6:7], off offset:1216
	v_add_co_u32 v4, vcc_lo, v4, s3
	v_add_co_ci_u32_e32 v5, vcc_lo, s2, v5, vcc_lo
	s_waitcnt vmcnt(0)
	v_mul_f32_e32 v8, v3, v1
	v_mul_f32_e32 v1, v2, v1
	v_fmac_f32_e32 v8, v2, v0
	v_fma_f32 v2, v0, v3, -v1
	v_cvt_f64_f32_e32 v[0:1], v8
	v_cvt_f64_f32_e32 v[2:3], v2
	v_mul_f64 v[0:1], v[0:1], s[0:1]
	v_mul_f64 v[2:3], v[2:3], s[0:1]
	v_cvt_f32_f64_e32 v0, v[0:1]
	v_cvt_f32_f64_e32 v1, v[2:3]
	global_store_dwordx2 v[4:5], v[0:1], off
	global_load_dwordx2 v[6:7], v[6:7], off offset:2000
	v_add_nc_u32_e32 v0, 0x2400, v118
	v_add_co_u32 v4, vcc_lo, v4, s3
	v_add_co_ci_u32_e32 v5, vcc_lo, s2, v5, vcc_lo
	ds_read2_b64 v[0:3], v0 offset0:122 offset1:220
	s_waitcnt vmcnt(0) lgkmcnt(0)
	v_mul_f32_e32 v8, v1, v7
	v_mul_f32_e32 v7, v0, v7
	v_fmac_f32_e32 v8, v0, v6
	v_fma_f32 v6, v6, v1, -v7
	v_cvt_f64_f32_e32 v[0:1], v8
	v_cvt_f64_f32_e32 v[6:7], v6
	v_mul_f64 v[0:1], v[0:1], s[0:1]
	v_mul_f64 v[6:7], v[6:7], s[0:1]
	v_cvt_f32_f64_e32 v0, v[0:1]
	v_cvt_f32_f64_e32 v1, v[6:7]
	v_add_co_u32 v6, vcc_lo, 0x2800, v10
	v_add_co_ci_u32_e32 v7, vcc_lo, 0, v11, vcc_lo
	global_store_dwordx2 v[4:5], v[0:1], off
	global_load_dwordx2 v[0:1], v[6:7], off offset:736
	v_add_co_u32 v4, vcc_lo, v4, s3
	v_add_co_ci_u32_e32 v5, vcc_lo, s2, v5, vcc_lo
	s_waitcnt vmcnt(0)
	v_mul_f32_e32 v8, v3, v1
	v_mul_f32_e32 v1, v2, v1
	v_fmac_f32_e32 v8, v2, v0
	v_fma_f32 v2, v0, v3, -v1
	v_cvt_f64_f32_e32 v[0:1], v8
	v_cvt_f64_f32_e32 v[2:3], v2
	v_mul_f64 v[0:1], v[0:1], s[0:1]
	v_mul_f64 v[2:3], v[2:3], s[0:1]
	v_cvt_f32_f64_e32 v0, v[0:1]
	v_cvt_f32_f64_e32 v1, v[2:3]
	global_store_dwordx2 v[4:5], v[0:1], off
	global_load_dwordx2 v[6:7], v[6:7], off offset:1520
	v_add_nc_u32_e32 v0, 0x2c00, v118
	v_add_co_u32 v4, vcc_lo, v4, s3
	v_add_co_ci_u32_e32 v5, vcc_lo, s2, v5, vcc_lo
	ds_read2_b64 v[0:3], v0 offset0:62 offset1:160
	s_waitcnt vmcnt(0) lgkmcnt(0)
	v_mul_f32_e32 v8, v1, v7
	v_mul_f32_e32 v7, v0, v7
	v_fmac_f32_e32 v8, v0, v6
	v_fma_f32 v6, v6, v1, -v7
	v_cvt_f64_f32_e32 v[0:1], v8
	v_cvt_f64_f32_e32 v[6:7], v6
	v_mul_f64 v[0:1], v[0:1], s[0:1]
	v_mul_f64 v[6:7], v[6:7], s[0:1]
	v_cvt_f32_f64_e32 v0, v[0:1]
	v_cvt_f32_f64_e32 v1, v[6:7]
	v_add_co_u32 v6, vcc_lo, 0x3000, v10
	v_add_co_ci_u32_e32 v7, vcc_lo, 0, v11, vcc_lo
	global_store_dwordx2 v[4:5], v[0:1], off
	global_load_dwordx2 v[0:1], v[6:7], off offset:256
	s_waitcnt vmcnt(0)
	v_mul_f32_e32 v6, v3, v1
	v_mul_f32_e32 v1, v2, v1
	v_fmac_f32_e32 v6, v2, v0
	v_fma_f32 v2, v0, v3, -v1
	v_cvt_f64_f32_e32 v[0:1], v6
	v_cvt_f64_f32_e32 v[2:3], v2
	v_mul_f64 v[0:1], v[0:1], s[0:1]
	v_mul_f64 v[2:3], v[2:3], s[0:1]
	v_cvt_f32_f64_e32 v0, v[0:1]
	v_cvt_f32_f64_e32 v1, v[2:3]
	v_add_co_u32 v2, vcc_lo, v4, s3
	v_add_co_ci_u32_e32 v3, vcc_lo, s2, v5, vcc_lo
	global_store_dwordx2 v[2:3], v[0:1], off
.LBB0_15:
	s_endpgm
	.section	.rodata,"a",@progbits
	.p2align	6, 0x0
	.amdhsa_kernel bluestein_single_fwd_len1666_dim1_sp_op_CI_CI
		.amdhsa_group_segment_fixed_size 13328
		.amdhsa_private_segment_fixed_size 0
		.amdhsa_kernarg_size 104
		.amdhsa_user_sgpr_count 6
		.amdhsa_user_sgpr_private_segment_buffer 1
		.amdhsa_user_sgpr_dispatch_ptr 0
		.amdhsa_user_sgpr_queue_ptr 0
		.amdhsa_user_sgpr_kernarg_segment_ptr 1
		.amdhsa_user_sgpr_dispatch_id 0
		.amdhsa_user_sgpr_flat_scratch_init 0
		.amdhsa_user_sgpr_private_segment_size 0
		.amdhsa_wavefront_size32 1
		.amdhsa_uses_dynamic_stack 0
		.amdhsa_system_sgpr_private_segment_wavefront_offset 0
		.amdhsa_system_sgpr_workgroup_id_x 1
		.amdhsa_system_sgpr_workgroup_id_y 0
		.amdhsa_system_sgpr_workgroup_id_z 0
		.amdhsa_system_sgpr_workgroup_info 0
		.amdhsa_system_vgpr_workitem_id 0
		.amdhsa_next_free_vgpr 216
		.amdhsa_next_free_sgpr 16
		.amdhsa_reserve_vcc 1
		.amdhsa_reserve_flat_scratch 0
		.amdhsa_float_round_mode_32 0
		.amdhsa_float_round_mode_16_64 0
		.amdhsa_float_denorm_mode_32 3
		.amdhsa_float_denorm_mode_16_64 3
		.amdhsa_dx10_clamp 1
		.amdhsa_ieee_mode 1
		.amdhsa_fp16_overflow 0
		.amdhsa_workgroup_processor_mode 1
		.amdhsa_memory_ordered 1
		.amdhsa_forward_progress 0
		.amdhsa_shared_vgpr_count 0
		.amdhsa_exception_fp_ieee_invalid_op 0
		.amdhsa_exception_fp_denorm_src 0
		.amdhsa_exception_fp_ieee_div_zero 0
		.amdhsa_exception_fp_ieee_overflow 0
		.amdhsa_exception_fp_ieee_underflow 0
		.amdhsa_exception_fp_ieee_inexact 0
		.amdhsa_exception_int_div_zero 0
	.end_amdhsa_kernel
	.text
.Lfunc_end0:
	.size	bluestein_single_fwd_len1666_dim1_sp_op_CI_CI, .Lfunc_end0-bluestein_single_fwd_len1666_dim1_sp_op_CI_CI
                                        ; -- End function
	.section	.AMDGPU.csdata,"",@progbits
; Kernel info:
; codeLenInByte = 21540
; NumSgprs: 18
; NumVgprs: 216
; ScratchSize: 0
; MemoryBound: 0
; FloatMode: 240
; IeeeMode: 1
; LDSByteSize: 13328 bytes/workgroup (compile time only)
; SGPRBlocks: 2
; VGPRBlocks: 26
; NumSGPRsForWavesPerEU: 18
; NumVGPRsForWavesPerEU: 216
; Occupancy: 4
; WaveLimiterHint : 1
; COMPUTE_PGM_RSRC2:SCRATCH_EN: 0
; COMPUTE_PGM_RSRC2:USER_SGPR: 6
; COMPUTE_PGM_RSRC2:TRAP_HANDLER: 0
; COMPUTE_PGM_RSRC2:TGID_X_EN: 1
; COMPUTE_PGM_RSRC2:TGID_Y_EN: 0
; COMPUTE_PGM_RSRC2:TGID_Z_EN: 0
; COMPUTE_PGM_RSRC2:TIDIG_COMP_CNT: 0
	.text
	.p2alignl 6, 3214868480
	.fill 48, 4, 3214868480
	.type	__hip_cuid_a744c131259c12d2,@object ; @__hip_cuid_a744c131259c12d2
	.section	.bss,"aw",@nobits
	.globl	__hip_cuid_a744c131259c12d2
__hip_cuid_a744c131259c12d2:
	.byte	0                               ; 0x0
	.size	__hip_cuid_a744c131259c12d2, 1

	.ident	"AMD clang version 19.0.0git (https://github.com/RadeonOpenCompute/llvm-project roc-6.4.0 25133 c7fe45cf4b819c5991fe208aaa96edf142730f1d)"
	.section	".note.GNU-stack","",@progbits
	.addrsig
	.addrsig_sym __hip_cuid_a744c131259c12d2
	.amdgpu_metadata
---
amdhsa.kernels:
  - .args:
      - .actual_access:  read_only
        .address_space:  global
        .offset:         0
        .size:           8
        .value_kind:     global_buffer
      - .actual_access:  read_only
        .address_space:  global
        .offset:         8
        .size:           8
        .value_kind:     global_buffer
      - .actual_access:  read_only
        .address_space:  global
        .offset:         16
        .size:           8
        .value_kind:     global_buffer
      - .actual_access:  read_only
        .address_space:  global
        .offset:         24
        .size:           8
        .value_kind:     global_buffer
      - .actual_access:  read_only
        .address_space:  global
        .offset:         32
        .size:           8
        .value_kind:     global_buffer
      - .offset:         40
        .size:           8
        .value_kind:     by_value
      - .address_space:  global
        .offset:         48
        .size:           8
        .value_kind:     global_buffer
      - .address_space:  global
        .offset:         56
        .size:           8
        .value_kind:     global_buffer
      - .address_space:  global
        .offset:         64
        .size:           8
        .value_kind:     global_buffer
      - .address_space:  global
        .offset:         72
        .size:           8
        .value_kind:     global_buffer
      - .offset:         80
        .size:           4
        .value_kind:     by_value
      - .address_space:  global
        .offset:         88
        .size:           8
        .value_kind:     global_buffer
      - .address_space:  global
        .offset:         96
        .size:           8
        .value_kind:     global_buffer
    .group_segment_fixed_size: 13328
    .kernarg_segment_align: 8
    .kernarg_segment_size: 104
    .language:       OpenCL C
    .language_version:
      - 2
      - 0
    .max_flat_workgroup_size: 119
    .name:           bluestein_single_fwd_len1666_dim1_sp_op_CI_CI
    .private_segment_fixed_size: 0
    .sgpr_count:     18
    .sgpr_spill_count: 0
    .symbol:         bluestein_single_fwd_len1666_dim1_sp_op_CI_CI.kd
    .uniform_work_group_size: 1
    .uses_dynamic_stack: false
    .vgpr_count:     216
    .vgpr_spill_count: 0
    .wavefront_size: 32
    .workgroup_processor_mode: 1
amdhsa.target:   amdgcn-amd-amdhsa--gfx1030
amdhsa.version:
  - 1
  - 2
...

	.end_amdgpu_metadata
